;; amdgpu-corpus repo=ROCm/rocFFT kind=compiled arch=gfx906 opt=O3
	.text
	.amdgcn_target "amdgcn-amd-amdhsa--gfx906"
	.amdhsa_code_object_version 6
	.protected	fft_rtc_back_len1155_factors_11_5_7_3_wgs_55_tpt_55_halfLds_sp_ip_CI_unitstride_sbrr_dirReg ; -- Begin function fft_rtc_back_len1155_factors_11_5_7_3_wgs_55_tpt_55_halfLds_sp_ip_CI_unitstride_sbrr_dirReg
	.globl	fft_rtc_back_len1155_factors_11_5_7_3_wgs_55_tpt_55_halfLds_sp_ip_CI_unitstride_sbrr_dirReg
	.p2align	8
	.type	fft_rtc_back_len1155_factors_11_5_7_3_wgs_55_tpt_55_halfLds_sp_ip_CI_unitstride_sbrr_dirReg,@function
fft_rtc_back_len1155_factors_11_5_7_3_wgs_55_tpt_55_halfLds_sp_ip_CI_unitstride_sbrr_dirReg: ; @fft_rtc_back_len1155_factors_11_5_7_3_wgs_55_tpt_55_halfLds_sp_ip_CI_unitstride_sbrr_dirReg
; %bb.0:
	s_load_dwordx2 s[12:13], s[4:5], 0x50
	s_load_dwordx4 s[8:11], s[4:5], 0x0
	s_load_dwordx2 s[2:3], s[4:5], 0x18
	v_mul_u32_u24_e32 v1, 0x4a8, v0
	v_add_u32_sdwa v5, s6, v1 dst_sel:DWORD dst_unused:UNUSED_PAD src0_sel:DWORD src1_sel:WORD_1
	v_mov_b32_e32 v3, 0
	s_waitcnt lgkmcnt(0)
	v_cmp_lt_u64_e64 s[0:1], s[10:11], 2
	v_mov_b32_e32 v1, 0
	v_mov_b32_e32 v6, v3
	s_and_b64 vcc, exec, s[0:1]
	v_mov_b32_e32 v2, 0
	s_cbranch_vccnz .LBB0_8
; %bb.1:
	s_load_dwordx2 s[0:1], s[4:5], 0x10
	s_add_u32 s6, s2, 8
	s_addc_u32 s7, s3, 0
	v_mov_b32_e32 v1, 0
	v_mov_b32_e32 v2, 0
	s_waitcnt lgkmcnt(0)
	s_add_u32 s14, s0, 8
	s_addc_u32 s15, s1, 0
	s_mov_b64 s[16:17], 1
.LBB0_2:                                ; =>This Inner Loop Header: Depth=1
	s_load_dwordx2 s[18:19], s[14:15], 0x0
                                        ; implicit-def: $vgpr7_vgpr8
	s_waitcnt lgkmcnt(0)
	v_or_b32_e32 v4, s19, v6
	v_cmp_ne_u64_e32 vcc, 0, v[3:4]
	s_and_saveexec_b64 s[0:1], vcc
	s_xor_b64 s[20:21], exec, s[0:1]
	s_cbranch_execz .LBB0_4
; %bb.3:                                ;   in Loop: Header=BB0_2 Depth=1
	v_cvt_f32_u32_e32 v4, s18
	v_cvt_f32_u32_e32 v7, s19
	s_sub_u32 s0, 0, s18
	s_subb_u32 s1, 0, s19
	v_mac_f32_e32 v4, 0x4f800000, v7
	v_rcp_f32_e32 v4, v4
	v_mul_f32_e32 v4, 0x5f7ffffc, v4
	v_mul_f32_e32 v7, 0x2f800000, v4
	v_trunc_f32_e32 v7, v7
	v_mac_f32_e32 v4, 0xcf800000, v7
	v_cvt_u32_f32_e32 v7, v7
	v_cvt_u32_f32_e32 v4, v4
	v_mul_lo_u32 v8, s0, v7
	v_mul_hi_u32 v9, s0, v4
	v_mul_lo_u32 v11, s1, v4
	v_mul_lo_u32 v10, s0, v4
	v_add_u32_e32 v8, v9, v8
	v_add_u32_e32 v8, v8, v11
	v_mul_hi_u32 v9, v4, v10
	v_mul_lo_u32 v11, v4, v8
	v_mul_hi_u32 v13, v4, v8
	v_mul_hi_u32 v12, v7, v10
	v_mul_lo_u32 v10, v7, v10
	v_mul_hi_u32 v14, v7, v8
	v_add_co_u32_e32 v9, vcc, v9, v11
	v_addc_co_u32_e32 v11, vcc, 0, v13, vcc
	v_mul_lo_u32 v8, v7, v8
	v_add_co_u32_e32 v9, vcc, v9, v10
	v_addc_co_u32_e32 v9, vcc, v11, v12, vcc
	v_addc_co_u32_e32 v10, vcc, 0, v14, vcc
	v_add_co_u32_e32 v8, vcc, v9, v8
	v_addc_co_u32_e32 v9, vcc, 0, v10, vcc
	v_add_co_u32_e32 v4, vcc, v4, v8
	v_addc_co_u32_e32 v7, vcc, v7, v9, vcc
	v_mul_lo_u32 v8, s0, v7
	v_mul_hi_u32 v9, s0, v4
	v_mul_lo_u32 v10, s1, v4
	v_mul_lo_u32 v11, s0, v4
	v_add_u32_e32 v8, v9, v8
	v_add_u32_e32 v8, v8, v10
	v_mul_lo_u32 v12, v4, v8
	v_mul_hi_u32 v13, v4, v11
	v_mul_hi_u32 v14, v4, v8
	;; [unrolled: 1-line block ×3, first 2 shown]
	v_mul_lo_u32 v11, v7, v11
	v_mul_hi_u32 v9, v7, v8
	v_add_co_u32_e32 v12, vcc, v13, v12
	v_addc_co_u32_e32 v13, vcc, 0, v14, vcc
	v_mul_lo_u32 v8, v7, v8
	v_add_co_u32_e32 v11, vcc, v12, v11
	v_addc_co_u32_e32 v10, vcc, v13, v10, vcc
	v_addc_co_u32_e32 v9, vcc, 0, v9, vcc
	v_add_co_u32_e32 v8, vcc, v10, v8
	v_addc_co_u32_e32 v9, vcc, 0, v9, vcc
	v_add_co_u32_e32 v4, vcc, v4, v8
	v_addc_co_u32_e32 v9, vcc, v7, v9, vcc
	v_mad_u64_u32 v[7:8], s[0:1], v5, v9, 0
	v_mul_hi_u32 v10, v5, v4
	v_add_co_u32_e32 v11, vcc, v10, v7
	v_addc_co_u32_e32 v12, vcc, 0, v8, vcc
	v_mad_u64_u32 v[7:8], s[0:1], v6, v4, 0
	v_mad_u64_u32 v[9:10], s[0:1], v6, v9, 0
	v_add_co_u32_e32 v4, vcc, v11, v7
	v_addc_co_u32_e32 v4, vcc, v12, v8, vcc
	v_addc_co_u32_e32 v7, vcc, 0, v10, vcc
	v_add_co_u32_e32 v4, vcc, v4, v9
	v_addc_co_u32_e32 v9, vcc, 0, v7, vcc
	v_mul_lo_u32 v10, s19, v4
	v_mul_lo_u32 v11, s18, v9
	v_mad_u64_u32 v[7:8], s[0:1], s18, v4, 0
	v_add3_u32 v8, v8, v11, v10
	v_sub_u32_e32 v10, v6, v8
	v_mov_b32_e32 v11, s19
	v_sub_co_u32_e32 v7, vcc, v5, v7
	v_subb_co_u32_e64 v10, s[0:1], v10, v11, vcc
	v_subrev_co_u32_e64 v11, s[0:1], s18, v7
	v_subbrev_co_u32_e64 v10, s[0:1], 0, v10, s[0:1]
	v_cmp_le_u32_e64 s[0:1], s19, v10
	v_cndmask_b32_e64 v12, 0, -1, s[0:1]
	v_cmp_le_u32_e64 s[0:1], s18, v11
	v_cndmask_b32_e64 v11, 0, -1, s[0:1]
	v_cmp_eq_u32_e64 s[0:1], s19, v10
	v_cndmask_b32_e64 v10, v12, v11, s[0:1]
	v_add_co_u32_e64 v11, s[0:1], 2, v4
	v_addc_co_u32_e64 v12, s[0:1], 0, v9, s[0:1]
	v_add_co_u32_e64 v13, s[0:1], 1, v4
	v_addc_co_u32_e64 v14, s[0:1], 0, v9, s[0:1]
	v_subb_co_u32_e32 v8, vcc, v6, v8, vcc
	v_cmp_ne_u32_e64 s[0:1], 0, v10
	v_cmp_le_u32_e32 vcc, s19, v8
	v_cndmask_b32_e64 v10, v14, v12, s[0:1]
	v_cndmask_b32_e64 v12, 0, -1, vcc
	v_cmp_le_u32_e32 vcc, s18, v7
	v_cndmask_b32_e64 v7, 0, -1, vcc
	v_cmp_eq_u32_e32 vcc, s19, v8
	v_cndmask_b32_e32 v7, v12, v7, vcc
	v_cmp_ne_u32_e32 vcc, 0, v7
	v_cndmask_b32_e64 v7, v13, v11, s[0:1]
	v_cndmask_b32_e32 v8, v9, v10, vcc
	v_cndmask_b32_e32 v7, v4, v7, vcc
.LBB0_4:                                ;   in Loop: Header=BB0_2 Depth=1
	s_andn2_saveexec_b64 s[0:1], s[20:21]
	s_cbranch_execz .LBB0_6
; %bb.5:                                ;   in Loop: Header=BB0_2 Depth=1
	v_cvt_f32_u32_e32 v4, s18
	s_sub_i32 s20, 0, s18
	v_rcp_iflag_f32_e32 v4, v4
	v_mul_f32_e32 v4, 0x4f7ffffe, v4
	v_cvt_u32_f32_e32 v4, v4
	v_mul_lo_u32 v7, s20, v4
	v_mul_hi_u32 v7, v4, v7
	v_add_u32_e32 v4, v4, v7
	v_mul_hi_u32 v4, v5, v4
	v_mul_lo_u32 v7, v4, s18
	v_add_u32_e32 v8, 1, v4
	v_sub_u32_e32 v7, v5, v7
	v_subrev_u32_e32 v9, s18, v7
	v_cmp_le_u32_e32 vcc, s18, v7
	v_cndmask_b32_e32 v7, v7, v9, vcc
	v_cndmask_b32_e32 v4, v4, v8, vcc
	v_add_u32_e32 v8, 1, v4
	v_cmp_le_u32_e32 vcc, s18, v7
	v_cndmask_b32_e32 v7, v4, v8, vcc
	v_mov_b32_e32 v8, v3
.LBB0_6:                                ;   in Loop: Header=BB0_2 Depth=1
	s_or_b64 exec, exec, s[0:1]
	v_mul_lo_u32 v4, v8, s18
	v_mul_lo_u32 v11, v7, s19
	v_mad_u64_u32 v[9:10], s[0:1], v7, s18, 0
	s_load_dwordx2 s[0:1], s[6:7], 0x0
	s_add_u32 s16, s16, 1
	v_add3_u32 v4, v10, v11, v4
	v_sub_co_u32_e32 v5, vcc, v5, v9
	v_subb_co_u32_e32 v4, vcc, v6, v4, vcc
	s_waitcnt lgkmcnt(0)
	v_mul_lo_u32 v4, s0, v4
	v_mul_lo_u32 v6, s1, v5
	v_mad_u64_u32 v[1:2], s[0:1], s0, v5, v[1:2]
	s_addc_u32 s17, s17, 0
	s_add_u32 s6, s6, 8
	v_add3_u32 v2, v6, v2, v4
	v_mov_b32_e32 v4, s10
	v_mov_b32_e32 v5, s11
	s_addc_u32 s7, s7, 0
	v_cmp_ge_u64_e32 vcc, s[16:17], v[4:5]
	s_add_u32 s14, s14, 8
	s_addc_u32 s15, s15, 0
	s_cbranch_vccnz .LBB0_9
; %bb.7:                                ;   in Loop: Header=BB0_2 Depth=1
	v_mov_b32_e32 v5, v7
	v_mov_b32_e32 v6, v8
	s_branch .LBB0_2
.LBB0_8:
	v_mov_b32_e32 v8, v6
	v_mov_b32_e32 v7, v5
.LBB0_9:
	s_lshl_b64 s[0:1], s[10:11], 3
	s_add_u32 s0, s2, s0
	s_addc_u32 s1, s3, s1
	s_load_dwordx2 s[2:3], s[0:1], 0x0
	s_load_dwordx2 s[6:7], s[4:5], 0x20
                                        ; implicit-def: $vgpr41
                                        ; implicit-def: $vgpr47
                                        ; implicit-def: $vgpr43
                                        ; implicit-def: $vgpr37
                                        ; implicit-def: $vgpr31
                                        ; implicit-def: $vgpr29
                                        ; implicit-def: $vgpr35
                                        ; implicit-def: $vgpr39
                                        ; implicit-def: $vgpr45
                                        ; implicit-def: $vgpr9
                                        ; implicit-def: $vgpr11
                                        ; implicit-def: $vgpr13
                                        ; implicit-def: $vgpr15
                                        ; implicit-def: $vgpr17
                                        ; implicit-def: $vgpr21
                                        ; implicit-def: $vgpr27
                                        ; implicit-def: $vgpr25
                                        ; implicit-def: $vgpr23
                                        ; implicit-def: $vgpr19
                                        ; implicit-def: $vgpr49
                                        ; implicit-def: $vgpr33
	s_waitcnt lgkmcnt(0)
	v_mad_u64_u32 v[1:2], s[0:1], s2, v7, v[1:2]
	s_mov_b32 s0, 0x4a7904b
	v_mul_lo_u32 v3, s2, v8
	v_mul_lo_u32 v4, s3, v7
	v_mul_hi_u32 v5, v0, s0
	v_cmp_gt_u64_e64 s[0:1], s[6:7], v[7:8]
	v_add3_u32 v2, v4, v2, v3
	v_mul_u32_u24_e32 v3, 55, v5
	v_sub_u32_e32 v0, v0, v3
	v_lshlrev_b64 v[2:3], 3, v[1:2]
	v_mov_b32_e32 v5, 0
	v_mov_b32_e32 v1, 0
	s_and_saveexec_b64 s[2:3], s[0:1]
	s_cbranch_execz .LBB0_13
; %bb.10:
	v_mov_b32_e32 v1, 0
	v_mov_b32_e32 v4, s13
	v_add_co_u32_e32 v6, vcc, s12, v2
	v_addc_co_u32_e32 v7, vcc, v4, v3, vcc
	v_lshlrev_b64 v[4:5], 3, v[0:1]
                                        ; implicit-def: $vgpr18
                                        ; implicit-def: $vgpr22
                                        ; implicit-def: $vgpr24
                                        ; implicit-def: $vgpr26
                                        ; implicit-def: $vgpr20
                                        ; implicit-def: $vgpr16
                                        ; implicit-def: $vgpr14
                                        ; implicit-def: $vgpr12
                                        ; implicit-def: $vgpr10
	v_add_co_u32_e32 v6, vcc, v6, v4
	v_addc_co_u32_e32 v7, vcc, v7, v5, vcc
	v_add_co_u32_e32 v4, vcc, 0x1000, v6
	v_addc_co_u32_e32 v5, vcc, 0, v7, vcc
	v_add_co_u32_e32 v8, vcc, 0x2000, v6
	global_load_dwordx2 v[30:31], v[6:7], off offset:3360
	global_load_dwordx2 v[28:29], v[4:5], off offset:104
	;; [unrolled: 1-line block ×4, first 2 shown]
	v_addc_co_u32_e32 v9, vcc, 0, v7, vcc
	global_load_dwordx2 v[38:39], v[4:5], off offset:2624
	global_load_dwordx2 v[44:45], v[4:5], off offset:3464
	;; [unrolled: 1-line block ×3, first 2 shown]
	global_load_dwordx2 v[40:41], v[6:7], off
	global_load_dwordx2 v[46:47], v[6:7], off offset:840
	global_load_dwordx2 v[42:43], v[6:7], off offset:1680
	;; [unrolled: 1-line block ×3, first 2 shown]
	v_cmp_gt_u32_e32 vcc, 50, v0
	v_mov_b32_e32 v5, v1
                                        ; implicit-def: $vgpr8
	s_and_saveexec_b64 s[4:5], vcc
	s_cbranch_execz .LBB0_12
; %bb.11:
	v_add_co_u32_e32 v50, vcc, 0x1000, v6
	v_addc_co_u32_e32 v51, vcc, 0, v7, vcc
	global_load_dwordx2 v[4:5], v[6:7], off offset:440
	global_load_dwordx2 v[8:9], v[6:7], off offset:1280
	;; [unrolled: 1-line block ×8, first 2 shown]
	v_add_co_u32_e32 v6, vcc, 0x2000, v6
	v_addc_co_u32_e32 v7, vcc, 0, v7, vcc
	global_load_dwordx2 v[22:23], v[50:51], off offset:3064
	global_load_dwordx2 v[24:25], v[50:51], off offset:3904
	;; [unrolled: 1-line block ×3, first 2 shown]
	s_waitcnt vmcnt(10)
	v_mov_b32_e32 v1, v4
.LBB0_12:
	s_or_b64 exec, exec, s[4:5]
.LBB0_13:
	s_or_b64 exec, exec, s[2:3]
	s_waitcnt vmcnt(2)
	v_add_f32_e32 v4, v40, v46
	s_waitcnt vmcnt(1)
	v_add_f32_e32 v4, v4, v42
	;; [unrolled: 2-line block ×3, first 2 shown]
	v_add_f32_e32 v4, v4, v30
	v_add_f32_e32 v4, v4, v28
	;; [unrolled: 1-line block ×5, first 2 shown]
	v_sub_f32_e32 v6, v47, v49
	v_add_f32_e32 v4, v4, v44
	v_mul_f32_e32 v7, 0xbf0a6770, v6
	v_mul_f32_e32 v51, 0xbf68dda4, v6
	;; [unrolled: 1-line block ×5, first 2 shown]
	v_add_f32_e32 v69, v48, v4
	v_add_f32_e32 v4, v48, v46
	s_mov_b32 s2, 0x3f575c64
	v_mov_b32_e32 v50, v7
	s_mov_b32 s4, 0x3ed4b147
	v_mov_b32_e32 v52, v51
	;; [unrolled: 2-line block ×5, first 2 shown]
	v_fmac_f32_e32 v50, 0x3f575c64, v4
	v_fma_f32 v7, v4, s2, -v7
	v_fmac_f32_e32 v52, 0x3ed4b147, v4
	v_fma_f32 v51, v4, s4, -v51
	;; [unrolled: 2-line block ×5, first 2 shown]
	v_add_f32_e32 v50, v50, v40
	v_add_f32_e32 v7, v7, v40
	;; [unrolled: 1-line block ×10, first 2 shown]
	v_sub_f32_e32 v40, v43, v45
	v_add_f32_e32 v6, v42, v44
	v_mul_f32_e32 v58, 0xbf68dda4, v40
	v_mov_b32_e32 v59, v58
	v_fma_f32 v58, v6, s4, -v58
	v_fmac_f32_e32 v59, 0x3ed4b147, v6
	v_add_f32_e32 v7, v58, v7
	v_mul_f32_e32 v58, 0xbf4178ce, v40
	v_add_f32_e32 v50, v59, v50
	v_mov_b32_e32 v59, v58
	v_fma_f32 v58, v6, s5, -v58
	v_fmac_f32_e32 v59, 0xbf27a4f4, v6
	v_add_f32_e32 v51, v58, v51
	v_mul_f32_e32 v58, 0x3e903f40, v40
	v_add_f32_e32 v52, v59, v52
	;; [unrolled: 6-line block ×3, first 2 shown]
	v_mov_b32_e32 v59, v58
	v_fma_f32 v58, v6, s3, -v58
	v_mul_f32_e32 v40, 0x3f0a6770, v40
	v_add_f32_e32 v55, v58, v55
	v_mov_b32_e32 v58, v40
	v_fmac_f32_e32 v59, 0xbe11bafb, v6
	v_fmac_f32_e32 v58, 0x3f575c64, v6
	v_fma_f32 v6, v6, s2, -v40
	v_sub_f32_e32 v40, v37, v39
	v_add_f32_e32 v57, v58, v57
	v_add_f32_e32 v4, v6, v4
	;; [unrolled: 1-line block ×3, first 2 shown]
	v_mul_f32_e32 v58, 0xbf7d64f0, v40
	v_add_f32_e32 v56, v59, v56
	v_mov_b32_e32 v59, v58
	v_fma_f32 v58, v6, s3, -v58
	v_fmac_f32_e32 v59, 0xbe11bafb, v6
	v_add_f32_e32 v7, v58, v7
	v_mul_f32_e32 v58, 0x3e903f40, v40
	v_add_f32_e32 v50, v59, v50
	v_mov_b32_e32 v59, v58
	v_fma_f32 v58, v6, s6, -v58
	v_fmac_f32_e32 v59, 0xbf75a155, v6
	v_add_f32_e32 v51, v58, v51
	;; [unrolled: 6-line block ×3, first 2 shown]
	v_mul_f32_e32 v58, 0xbf0a6770, v40
	v_add_f32_e32 v54, v59, v54
	v_mov_b32_e32 v59, v58
	v_fma_f32 v58, v6, s2, -v58
	v_mul_f32_e32 v40, 0xbf4178ce, v40
	v_add_f32_e32 v55, v58, v55
	v_mov_b32_e32 v58, v40
	v_fmac_f32_e32 v59, 0x3f575c64, v6
	v_fmac_f32_e32 v58, 0xbf27a4f4, v6
	v_fma_f32 v6, v6, s5, -v40
	v_sub_f32_e32 v40, v31, v35
	v_add_f32_e32 v57, v58, v57
	v_add_f32_e32 v4, v6, v4
	;; [unrolled: 1-line block ×3, first 2 shown]
	v_mul_f32_e32 v58, 0xbf4178ce, v40
	v_add_f32_e32 v56, v59, v56
	v_mov_b32_e32 v59, v58
	v_fma_f32 v58, v6, s5, -v58
	v_fmac_f32_e32 v59, 0xbf27a4f4, v6
	v_add_f32_e32 v7, v58, v7
	v_mul_f32_e32 v58, 0x3f7d64f0, v40
	v_add_f32_e32 v50, v59, v50
	v_mov_b32_e32 v59, v58
	v_fma_f32 v58, v6, s3, -v58
	v_fmac_f32_e32 v59, 0xbe11bafb, v6
	v_add_f32_e32 v51, v58, v51
	v_mul_f32_e32 v58, 0xbf0a6770, v40
	v_add_f32_e32 v52, v59, v52
	v_mov_b32_e32 v59, v58
	v_fma_f32 v58, v6, s2, -v58
	v_fmac_f32_e32 v59, 0x3f575c64, v6
	v_add_f32_e32 v53, v58, v53
	v_mul_f32_e32 v58, 0xbe903f40, v40
	v_add_f32_e32 v54, v59, v54
	v_mov_b32_e32 v59, v58
	v_fma_f32 v58, v6, s6, -v58
	v_mul_f32_e32 v40, 0x3f68dda4, v40
	v_add_f32_e32 v55, v58, v55
	v_mov_b32_e32 v58, v40
	v_fmac_f32_e32 v59, 0xbf75a155, v6
	v_fmac_f32_e32 v58, 0x3ed4b147, v6
	v_fma_f32 v6, v6, s4, -v40
	v_sub_f32_e32 v40, v29, v33
	v_add_f32_e32 v57, v58, v57
	v_mul_f32_e32 v58, 0xbe903f40, v40
	v_add_f32_e32 v56, v59, v56
	v_add_f32_e32 v4, v6, v4
	;; [unrolled: 1-line block ×3, first 2 shown]
	v_mov_b32_e32 v59, v58
	v_fmac_f32_e32 v59, 0xbf75a155, v6
	v_add_f32_e32 v70, v59, v50
	v_fma_f32 v50, v6, s6, -v58
	v_add_f32_e32 v71, v50, v7
	v_mul_f32_e32 v7, 0x3f0a6770, v40
	v_mov_b32_e32 v50, v7
	v_fma_f32 v7, v6, s2, -v7
	v_fmac_f32_e32 v50, 0x3f575c64, v6
	v_add_f32_e32 v73, v7, v51
	v_mul_f32_e32 v7, 0xbf4178ce, v40
	v_add_f32_e32 v72, v50, v52
	v_mov_b32_e32 v50, v7
	v_fma_f32 v7, v6, s5, -v7
	v_fmac_f32_e32 v50, 0xbf27a4f4, v6
	v_add_f32_e32 v75, v7, v53
	v_mul_f32_e32 v7, 0x3f68dda4, v40
	v_add_f32_e32 v74, v50, v54
	v_mov_b32_e32 v50, v7
	v_fma_f32 v7, v6, s4, -v7
	v_add_f32_e32 v77, v7, v55
	v_mul_f32_e32 v7, 0xbf7d64f0, v40
	v_mov_b32_e32 v40, v7
	v_fmac_f32_e32 v40, 0xbe11bafb, v6
	v_sub_f32_e32 v55, v9, v27
	v_fmac_f32_e32 v50, 0x3ed4b147, v6
	v_add_f32_e32 v78, v40, v57
	v_fma_f32 v6, v6, s3, -v7
	v_add_f32_e32 v63, v8, v26
	v_mul_f32_e32 v40, 0xbf0a6770, v55
	v_sub_f32_e32 v58, v11, v25
	v_add_f32_e32 v76, v50, v56
	v_add_f32_e32 v79, v6, v4
	v_fma_f32 v4, v63, s2, -v40
	v_mul_f32_e32 v52, 0xbf68dda4, v55
	v_add_f32_e32 v65, v10, v24
	v_mul_f32_e32 v50, 0xbf68dda4, v58
	v_add_f32_e32 v4, v1, v4
	v_fma_f32 v6, v63, s4, -v52
	v_fma_f32 v7, v65, s4, -v50
	v_mul_f32_e32 v54, 0xbf4178ce, v58
	v_sub_f32_e32 v60, v13, v23
	v_add_f32_e32 v6, v1, v6
	v_add_f32_e32 v4, v4, v7
	v_fma_f32 v7, v65, s5, -v54
	v_add_f32_e32 v66, v12, v22
	v_mul_f32_e32 v51, 0xbf7d64f0, v60
	v_add_f32_e32 v6, v6, v7
	v_fma_f32 v7, v66, s3, -v51
	v_mul_f32_e32 v57, 0x3e903f40, v60
	v_sub_f32_e32 v62, v15, v21
	v_add_f32_e32 v4, v4, v7
	v_fma_f32 v7, v66, s6, -v57
	v_add_f32_e32 v67, v14, v20
	v_mul_f32_e32 v53, 0xbf4178ce, v62
	v_add_f32_e32 v6, v6, v7
	v_fma_f32 v7, v67, s5, -v53
	v_mul_f32_e32 v59, 0x3f7d64f0, v62
	v_sub_f32_e32 v64, v17, v19
	v_add_f32_e32 v4, v7, v4
	v_fma_f32 v7, v67, s3, -v59
	v_add_f32_e32 v68, v16, v18
	v_mul_f32_e32 v56, 0xbe903f40, v64
	v_add_f32_e32 v6, v7, v6
	v_fma_f32 v7, v68, s6, -v56
	v_mul_f32_e32 v61, 0x3f0a6770, v64
	v_add_f32_e32 v7, v4, v7
	v_fma_f32 v4, v68, s2, -v61
	v_add_f32_e32 v6, v6, v4
	v_mad_u32_u24 v4, v0, 44, 0
	v_cmp_gt_u32_e64 s[2:3], 50, v0
	ds_write2_b32 v4, v69, v70 offset1:1
	ds_write2_b32 v4, v72, v74 offset0:2 offset1:3
	ds_write2_b32 v4, v76, v78 offset0:4 offset1:5
	;; [unrolled: 1-line block ×4, first 2 shown]
	ds_write_b32 v4, v71 offset:40
	s_and_saveexec_b64 s[4:5], s[2:3]
	s_cbranch_execz .LBB0_15
; %bb.14:
	v_mul_f32_e32 v79, 0xbf75a155, v63
	v_mov_b32_e32 v80, v79
	v_mul_f32_e32 v81, 0x3f575c64, v65
	v_fmac_f32_e32 v80, 0x3e903f40, v55
	v_mov_b32_e32 v82, v81
	v_add_f32_e32 v80, v1, v80
	v_fmac_f32_e32 v82, 0xbf0a6770, v58
	v_add_f32_e32 v80, v80, v82
	v_mul_f32_e32 v82, 0xbf27a4f4, v66
	v_mov_b32_e32 v83, v82
	v_fmac_f32_e32 v83, 0x3f4178ce, v60
	v_add_f32_e32 v80, v80, v83
	v_mul_f32_e32 v83, 0x3ed4b147, v67
	v_fmac_f32_e32 v79, 0xbe903f40, v55
	v_mov_b32_e32 v84, v83
	v_add_f32_e32 v79, v1, v79
	v_fmac_f32_e32 v81, 0x3f0a6770, v58
	v_fmac_f32_e32 v84, 0xbf68dda4, v62
	v_add_f32_e32 v79, v79, v81
	v_fmac_f32_e32 v82, 0xbf4178ce, v60
	v_add_f32_e32 v80, v84, v80
	v_mul_f32_e32 v84, 0xbe11bafb, v68
	v_add_f32_e32 v79, v79, v82
	v_fmac_f32_e32 v83, 0x3f68dda4, v62
	v_mul_f32_e32 v81, 0xbf27a4f4, v63
	v_mov_b32_e32 v85, v84
	v_add_f32_e32 v79, v83, v79
	v_fmac_f32_e32 v84, 0xbf7d64f0, v64
	v_mov_b32_e32 v82, v81
	v_mul_f32_e32 v83, 0xbe11bafb, v65
	v_fmac_f32_e32 v81, 0xbf4178ce, v55
	v_mul_f32_e32 v69, 0x3f575c64, v63
	v_mul_f32_e32 v70, 0x3ed4b147, v63
	v_add_f32_e32 v79, v79, v84
	v_mov_b32_e32 v84, v83
	v_add_f32_e32 v81, v1, v81
	v_fmac_f32_e32 v83, 0x3f7d64f0, v58
	v_mul_f32_e32 v63, 0xbe11bafb, v63
	v_add_f32_e32 v81, v81, v83
	v_mov_b32_e32 v83, v63
	v_fmac_f32_e32 v82, 0x3f4178ce, v55
	v_fmac_f32_e32 v83, 0x3f7d64f0, v55
	;; [unrolled: 1-line block ×3, first 2 shown]
	v_add_f32_e32 v52, v52, v70
	v_add_f32_e32 v40, v40, v69
	;; [unrolled: 1-line block ×3, first 2 shown]
	v_fmac_f32_e32 v84, 0xbf7d64f0, v58
	v_add_f32_e32 v83, v1, v83
	v_add_f32_e32 v55, v1, v63
	;; [unrolled: 1-line block ×5, first 2 shown]
	v_fmac_f32_e32 v85, 0x3f7d64f0, v64
	v_add_f32_e32 v82, v82, v84
	v_mul_f32_e32 v84, 0x3f575c64, v66
	v_add_f32_e32 v1, v1, v10
	v_mul_f32_e32 v71, 0x3ed4b147, v65
	v_mul_f32_e32 v72, 0xbf27a4f4, v65
	v_add_f32_e32 v80, v80, v85
	v_mov_b32_e32 v85, v84
	v_fmac_f32_e32 v84, 0xbf0a6770, v60
	v_mul_f32_e32 v65, 0xbf75a155, v65
	v_add_f32_e32 v1, v1, v12
	v_add_f32_e32 v81, v81, v84
	v_mov_b32_e32 v84, v65
	v_add_f32_e32 v1, v1, v14
	v_mul_f32_e32 v73, 0xbe11bafb, v66
	v_mul_f32_e32 v74, 0xbf75a155, v66
	v_fmac_f32_e32 v85, 0x3f0a6770, v60
	v_fmac_f32_e32 v84, 0xbe903f40, v58
	v_mul_f32_e32 v66, 0x3ed4b147, v66
	v_add_f32_e32 v1, v1, v16
	v_add_f32_e32 v82, v82, v85
	v_mul_f32_e32 v85, 0xbf75a155, v67
	v_add_f32_e32 v83, v83, v84
	v_mov_b32_e32 v84, v66
	v_add_f32_e32 v50, v50, v71
	v_add_f32_e32 v1, v1, v18
	v_mul_f32_e32 v75, 0xbf27a4f4, v67
	v_mul_f32_e32 v76, 0xbe11bafb, v67
	v_mov_b32_e32 v86, v85
	v_fmac_f32_e32 v84, 0xbf68dda4, v60
	v_mul_f32_e32 v67, 0x3f575c64, v67
	v_fmac_f32_e32 v65, 0x3e903f40, v58
	v_add_f32_e32 v54, v54, v72
	v_add_f32_e32 v40, v40, v50
	;; [unrolled: 1-line block ×4, first 2 shown]
	v_mul_f32_e32 v77, 0xbf75a155, v68
	v_fmac_f32_e32 v86, 0x3e903f40, v62
	v_add_f32_e32 v83, v83, v84
	v_mov_b32_e32 v84, v67
	v_add_f32_e32 v55, v55, v65
	v_fmac_f32_e32 v66, 0x3f68dda4, v60
	v_add_f32_e32 v52, v52, v54
	v_add_f32_e32 v54, v57, v74
	;; [unrolled: 1-line block ×5, first 2 shown]
	v_mul_f32_e32 v78, 0x3f575c64, v68
	v_add_f32_e32 v82, v86, v82
	v_mul_f32_e32 v86, 0x3ed4b147, v68
	v_fmac_f32_e32 v84, 0x3f0a6770, v62
	v_mul_f32_e32 v68, 0xbf27a4f4, v68
	v_add_f32_e32 v55, v55, v66
	v_fmac_f32_e32 v67, 0xbf0a6770, v62
	v_add_f32_e32 v52, v52, v54
	v_add_f32_e32 v54, v59, v76
	;; [unrolled: 1-line block ×5, first 2 shown]
	v_fmac_f32_e32 v85, 0xbe903f40, v62
	v_add_f32_e32 v83, v84, v83
	v_mov_b32_e32 v84, v68
	v_add_f32_e32 v55, v67, v55
	v_fmac_f32_e32 v68, 0xbf4178ce, v64
	v_add_f32_e32 v52, v54, v52
	v_add_f32_e32 v54, v61, v78
	;; [unrolled: 1-line block ×4, first 2 shown]
	v_add_u32_e32 v50, 0x974, v4
	v_mov_b32_e32 v87, v86
	v_add_f32_e32 v81, v85, v81
	v_fmac_f32_e32 v86, 0x3f68dda4, v64
	v_add_f32_e32 v55, v55, v68
	v_add_f32_e32 v52, v52, v54
	ds_write2_b32 v50, v1, v40 offset1:1
	v_add_u32_e32 v1, 0x97c, v4
	v_fmac_f32_e32 v87, 0xbf68dda4, v64
	v_add_f32_e32 v81, v81, v86
	ds_write2_b32 v1, v52, v55 offset1:1
	v_add_u32_e32 v1, 0x984, v4
	v_add_f32_e32 v82, v82, v87
	v_fmac_f32_e32 v84, 0x3f4178ce, v64
	ds_write2_b32 v1, v81, v79 offset1:1
	v_add_u32_e32 v1, 0x98c, v4
	v_add_f32_e32 v83, v83, v84
	ds_write2_b32 v1, v80, v82 offset1:1
	v_add_u32_e32 v1, 0x994, v4
	ds_write2_b32 v1, v83, v6 offset1:1
	ds_write_b32 v4, v7 offset:2460
.LBB0_15:
	s_or_b64 exec, exec, s[4:5]
	s_movk_i32 s4, 0xffd8
	v_mad_i32_i24 v1, v0, s4, v4
	v_add_u32_e32 v40, 0x200, v1
	s_waitcnt lgkmcnt(0)
	; wave barrier
	s_waitcnt lgkmcnt(0)
	ds_read2_b32 v[64:65], v40 offset0:103 offset1:158
	v_add_u32_e32 v40, 0x600, v1
	ds_read2_b32 v[66:67], v40 offset0:78 offset1:133
	v_add_u32_e32 v40, 0x800, v1
	v_add_u32_e32 v54, 0xc00, v1
	;; [unrolled: 1-line block ×3, first 2 shown]
	ds_read2_b32 v[52:53], v1 offset1:55
	ds_read2_b32 v[68:69], v40 offset0:181 offset1:236
	ds_read2_b32 v[70:71], v54 offset0:156 offset1:211
	;; [unrolled: 1-line block ×6, first 2 shown]
	v_add_u32_e32 v40, 0x1000, v1
	ds_read2_b32 v[56:57], v40 offset0:10 offset1:65
	v_cmp_gt_u32_e32 vcc, 11, v0
                                        ; implicit-def: $vgpr40
                                        ; implicit-def: $vgpr55
	s_and_saveexec_b64 s[4:5], vcc
	s_cbranch_execz .LBB0_17
; %bb.16:
	v_add_u32_e32 v6, 0x340, v1
	v_add_u32_e32 v40, 0xa80, v1
	ds_read2_b32 v[6:7], v6 offset0:12 offset1:243
	ds_read2_b32 v[54:55], v40 offset0:10 offset1:241
	ds_read_b32 v40, v1 offset:4576
.LBB0_17:
	s_or_b64 exec, exec, s[4:5]
	v_add_f32_e32 v72, v41, v47
	v_add_f32_e32 v72, v72, v43
	;; [unrolled: 1-line block ×8, first 2 shown]
	v_sub_f32_e32 v46, v46, v48
	v_add_f32_e32 v72, v72, v45
	v_add_f32_e32 v47, v49, v47
	v_mul_f32_e32 v48, 0xbf0a6770, v46
	s_mov_b32 s11, 0x3f575c64
	v_mul_f32_e32 v73, 0xbf68dda4, v46
	s_mov_b32 s6, 0x3ed4b147
	;; [unrolled: 2-line block ×5, first 2 shown]
	v_sub_f32_e32 v42, v42, v44
	v_add_f32_e32 v72, v49, v72
	v_fma_f32 v49, v47, s11, -v48
	v_fmac_f32_e32 v48, 0x3f575c64, v47
	v_fma_f32 v74, v47, s6, -v73
	v_fmac_f32_e32 v73, 0x3ed4b147, v47
	;; [unrolled: 2-line block ×5, first 2 shown]
	v_add_f32_e32 v43, v43, v45
	v_mul_f32_e32 v44, 0xbf68dda4, v42
	v_add_f32_e32 v49, v49, v41
	v_add_f32_e32 v48, v48, v41
	;; [unrolled: 1-line block ×10, first 2 shown]
	v_fma_f32 v45, v43, s6, -v44
	v_fmac_f32_e32 v44, 0x3ed4b147, v43
	v_mul_f32_e32 v46, 0xbf4178ce, v42
	v_add_f32_e32 v44, v44, v48
	v_fma_f32 v47, v43, s10, -v46
	v_fmac_f32_e32 v46, 0xbf27a4f4, v43
	v_mul_f32_e32 v48, 0x3e903f40, v42
	v_add_f32_e32 v45, v45, v49
	v_add_f32_e32 v46, v46, v73
	v_fma_f32 v49, v43, s14, -v48
	v_fmac_f32_e32 v48, 0xbf75a155, v43
	v_mul_f32_e32 v73, 0x3f7d64f0, v42
	v_mul_f32_e32 v42, 0x3f0a6770, v42
	v_sub_f32_e32 v36, v36, v38
	v_add_f32_e32 v48, v48, v75
	v_fma_f32 v75, v43, s11, -v42
	v_fmac_f32_e32 v42, 0x3f575c64, v43
	v_add_f32_e32 v37, v37, v39
	v_mul_f32_e32 v38, 0xbf7d64f0, v36
	v_add_f32_e32 v41, v42, v41
	v_fma_f32 v39, v37, s7, -v38
	v_fmac_f32_e32 v38, 0xbe11bafb, v37
	v_mul_f32_e32 v42, 0x3e903f40, v36
	v_add_f32_e32 v47, v47, v74
	v_fma_f32 v74, v43, s7, -v73
	v_fmac_f32_e32 v73, 0xbe11bafb, v43
	v_add_f32_e32 v38, v38, v44
	v_fma_f32 v43, v37, s14, -v42
	v_fmac_f32_e32 v42, 0xbf75a155, v37
	v_mul_f32_e32 v44, 0x3f68dda4, v36
	v_sub_f32_e32 v30, v30, v34
	v_add_f32_e32 v39, v39, v45
	v_add_f32_e32 v42, v42, v46
	v_fma_f32 v45, v37, s6, -v44
	v_fmac_f32_e32 v44, 0x3ed4b147, v37
	v_mul_f32_e32 v46, 0xbf0a6770, v36
	v_mul_f32_e32 v36, 0xbf4178ce, v36
	v_add_f32_e32 v31, v31, v35
	v_mul_f32_e32 v34, 0xbf4178ce, v30
	v_add_f32_e32 v43, v43, v47
	v_add_f32_e32 v44, v44, v48
	v_fma_f32 v47, v37, s11, -v46
	v_fmac_f32_e32 v46, 0x3f575c64, v37
	v_fma_f32 v48, v37, s10, -v36
	v_fmac_f32_e32 v36, 0xbf27a4f4, v37
	v_fma_f32 v35, v31, s10, -v34
	v_fmac_f32_e32 v34, 0xbf27a4f4, v31
	v_mul_f32_e32 v37, 0x3f7d64f0, v30
	v_add_f32_e32 v35, v35, v39
	v_add_f32_e32 v34, v34, v38
	v_fma_f32 v38, v31, s7, -v37
	v_fmac_f32_e32 v37, 0xbe11bafb, v31
	v_mul_f32_e32 v39, 0xbf0a6770, v30
	v_add_f32_e32 v36, v36, v41
	v_add_f32_e32 v37, v37, v42
	v_fma_f32 v41, v31, s11, -v39
	v_fmac_f32_e32 v39, 0x3f575c64, v31
	v_mul_f32_e32 v42, 0xbe903f40, v30
	v_mul_f32_e32 v30, 0x3f68dda4, v30
	v_sub_f32_e32 v28, v28, v32
	v_add_f32_e32 v73, v73, v77
	v_add_f32_e32 v38, v38, v43
	;; [unrolled: 1-line block ×3, first 2 shown]
	v_fma_f32 v43, v31, s14, -v42
	v_fmac_f32_e32 v42, 0xbf75a155, v31
	v_fma_f32 v44, v31, s6, -v30
	v_fmac_f32_e32 v30, 0x3ed4b147, v31
	v_add_f32_e32 v29, v33, v29
	v_mul_f32_e32 v31, 0xbe903f40, v28
	v_add_f32_e32 v49, v49, v76
	v_add_f32_e32 v46, v46, v73
	v_fma_f32 v32, v29, s14, -v31
	v_fmac_f32_e32 v31, 0xbf75a155, v29
	v_add_f32_e32 v75, v75, v79
	v_add_f32_e32 v45, v45, v49
	;; [unrolled: 1-line block ×4, first 2 shown]
	v_mul_f32_e32 v31, 0x3f0a6770, v28
	v_add_f32_e32 v74, v74, v78
	v_add_f32_e32 v48, v48, v75
	;; [unrolled: 1-line block ×4, first 2 shown]
	v_fma_f32 v32, v29, s11, -v31
	v_fmac_f32_e32 v31, 0x3f575c64, v29
	v_add_f32_e32 v47, v47, v74
	v_add_f32_e32 v44, v44, v48
	;; [unrolled: 1-line block ×3, first 2 shown]
	v_mul_f32_e32 v31, 0xbf4178ce, v28
	v_add_f32_e32 v43, v43, v47
	v_add_f32_e32 v47, v32, v38
	v_fma_f32 v32, v29, s10, -v31
	v_fmac_f32_e32 v31, 0xbf27a4f4, v29
	v_add_f32_e32 v30, v30, v36
	v_add_f32_e32 v73, v31, v39
	v_mul_f32_e32 v31, 0x3f68dda4, v28
	v_sub_f32_e32 v36, v8, v26
	v_add_f32_e32 v49, v32, v41
	v_fma_f32 v32, v29, s6, -v31
	v_mul_f32_e32 v41, 0xbf68dda4, v36
	v_add_f32_e32 v43, v32, v43
	v_fmac_f32_e32 v31, 0x3ed4b147, v29
	v_mul_f32_e32 v28, 0xbf7d64f0, v28
	v_add_f32_e32 v34, v9, v27
	v_mul_f32_e32 v39, 0xbf0a6770, v36
	v_mov_b32_e32 v26, v41
	v_sub_f32_e32 v32, v10, v24
	v_add_f32_e32 v42, v31, v42
	v_fma_f32 v31, v29, s7, -v28
	v_fmac_f32_e32 v28, 0xbe11bafb, v29
	v_mov_b32_e32 v8, v39
	v_fmac_f32_e32 v26, 0x3ed4b147, v34
	v_mul_f32_e32 v37, 0xbf68dda4, v32
	v_sub_f32_e32 v22, v12, v22
	v_add_f32_e32 v74, v28, v30
	v_fmac_f32_e32 v8, 0x3f575c64, v34
	v_add_f32_e32 v28, v5, v26
	v_add_f32_e32 v26, v11, v25
	v_mov_b32_e32 v10, v37
	v_mul_f32_e32 v33, 0xbf7d64f0, v22
	v_add_f32_e32 v8, v5, v8
	v_fmac_f32_e32 v10, 0x3ed4b147, v26
	v_mul_f32_e32 v38, 0xbf4178ce, v32
	v_add_f32_e32 v24, v13, v23
	v_mov_b32_e32 v12, v33
	v_add_f32_e32 v8, v8, v10
	v_mov_b32_e32 v10, v38
	v_fmac_f32_e32 v12, 0xbe11bafb, v24
	v_mul_f32_e32 v35, 0x3e903f40, v22
	v_fmac_f32_e32 v10, 0xbf27a4f4, v26
	v_add_f32_e32 v8, v8, v12
	v_mov_b32_e32 v12, v35
	v_sub_f32_e32 v14, v14, v20
	v_add_f32_e32 v10, v28, v10
	v_fmac_f32_e32 v12, 0xbf75a155, v24
	v_mul_f32_e32 v20, 0xbf4178ce, v14
	v_add_f32_e32 v10, v10, v12
	v_add_f32_e32 v12, v15, v21
	v_mov_b32_e32 v28, v20
	v_add_f32_e32 v44, v31, v44
	v_fmac_f32_e32 v28, 0xbf27a4f4, v12
	v_mul_f32_e32 v31, 0x3f7d64f0, v14
	v_add_f32_e32 v28, v28, v8
	v_mov_b32_e32 v8, v31
	v_fmac_f32_e32 v8, 0xbe11bafb, v12
	v_add_f32_e32 v30, v8, v10
	v_sub_f32_e32 v10, v16, v18
	v_mul_f32_e32 v16, 0xbe903f40, v10
	v_add_f32_e32 v8, v17, v19
	v_mov_b32_e32 v18, v16
	v_fmac_f32_e32 v18, 0xbf75a155, v8
	v_add_f32_e32 v29, v28, v18
	v_mul_f32_e32 v18, 0x3f0a6770, v10
	v_mov_b32_e32 v28, v18
	v_fmac_f32_e32 v28, 0x3f575c64, v8
	v_add_f32_e32 v28, v30, v28
	v_add_u32_e32 v30, 55, v0
	s_waitcnt lgkmcnt(0)
	; wave barrier
	s_waitcnt lgkmcnt(0)
	ds_write2_b32 v4, v72, v45 offset1:1
	ds_write2_b32 v4, v47, v49 offset0:2 offset1:3
	ds_write2_b32 v4, v43, v44 offset0:4 offset1:5
	;; [unrolled: 1-line block ×4, first 2 shown]
	ds_write_b32 v4, v46 offset:40
	s_and_saveexec_b64 s[4:5], s[2:3]
	s_cbranch_execz .LBB0_19
; %bb.18:
	v_add_f32_e32 v9, v5, v9
	v_add_f32_e32 v9, v9, v11
	;; [unrolled: 1-line block ×6, first 2 shown]
	v_mul_f32_e32 v4, 0x3f575c64, v34
	v_mul_f32_e32 v42, 0x3ed4b147, v34
	v_add_f32_e32 v9, v21, v9
	v_mul_f32_e32 v13, 0xbf7d64f0, v36
	v_mul_f32_e32 v17, 0xbf4178ce, v36
	;; [unrolled: 1-line block ×4, first 2 shown]
	v_add_f32_e32 v9, v23, v9
	v_sub_f32_e32 v4, v4, v39
	v_sub_f32_e32 v11, v42, v41
	v_fma_f32 v15, v34, s7, -v13
	v_fmac_f32_e32 v13, 0xbe11bafb, v34
	v_fma_f32 v19, v34, s10, -v17
	v_fmac_f32_e32 v17, 0xbf27a4f4, v34
	v_fma_f32 v23, v34, s14, -v21
	v_fmac_f32_e32 v21, 0xbf75a155, v34
	v_mul_f32_e32 v44, 0xbf27a4f4, v26
	v_add_f32_e32 v4, v5, v4
	v_add_f32_e32 v11, v5, v11
	;; [unrolled: 1-line block ×8, first 2 shown]
	v_sub_f32_e32 v21, v43, v37
	v_add_f32_e32 v4, v4, v21
	v_sub_f32_e32 v21, v44, v38
	v_add_f32_e32 v11, v11, v21
	v_mul_f32_e32 v21, 0x3e903f40, v32
	v_add_f32_e32 v9, v25, v9
	v_fma_f32 v25, v26, s14, -v21
	v_fmac_f32_e32 v21, 0xbf75a155, v26
	v_add_f32_e32 v13, v13, v21
	v_mul_f32_e32 v21, 0x3f7d64f0, v32
	v_add_f32_e32 v15, v15, v25
	v_fma_f32 v25, v26, s7, -v21
	v_fmac_f32_e32 v21, 0xbe11bafb, v26
	v_add_f32_e32 v17, v17, v21
	v_mul_f32_e32 v21, 0x3f0a6770, v32
	v_mul_f32_e32 v45, 0xbe11bafb, v24
	v_add_f32_e32 v19, v19, v25
	v_fma_f32 v25, v26, s11, -v21
	v_fmac_f32_e32 v21, 0x3f575c64, v26
	v_mul_f32_e32 v46, 0xbf75a155, v24
	v_add_f32_e32 v5, v5, v21
	v_sub_f32_e32 v21, v45, v33
	v_add_f32_e32 v4, v4, v21
	v_sub_f32_e32 v21, v46, v35
	v_add_f32_e32 v11, v11, v21
	v_mul_f32_e32 v21, 0x3f68dda4, v22
	v_add_f32_e32 v23, v23, v25
	v_fma_f32 v25, v24, s6, -v21
	v_fmac_f32_e32 v21, 0x3ed4b147, v24
	v_mul_f32_e32 v47, 0xbf27a4f4, v12
	v_add_f32_e32 v13, v13, v21
	v_mul_f32_e32 v21, 0xbf0a6770, v22
	v_mul_f32_e32 v48, 0xbe11bafb, v12
	v_add_f32_e32 v15, v15, v25
	v_fma_f32 v25, v24, s11, -v21
	v_fmac_f32_e32 v21, 0x3f575c64, v24
	v_sub_f32_e32 v20, v47, v20
	v_add_f32_e32 v17, v17, v21
	v_mul_f32_e32 v21, 0xbf4178ce, v22
	v_add_f32_e32 v4, v20, v4
	v_sub_f32_e32 v20, v48, v31
	v_fma_f32 v22, v24, s10, -v21
	v_fmac_f32_e32 v21, 0xbf27a4f4, v24
	v_add_f32_e32 v11, v20, v11
	v_mul_f32_e32 v20, 0xbf0a6770, v14
	v_add_f32_e32 v5, v5, v21
	v_fma_f32 v21, v12, s11, -v20
	v_fmac_f32_e32 v20, 0x3f575c64, v12
	v_add_f32_e32 v13, v20, v13
	v_mul_f32_e32 v20, 0xbe903f40, v14
	v_mul_f32_e32 v49, 0xbf75a155, v8
	v_add_f32_e32 v15, v21, v15
	v_fma_f32 v21, v12, s14, -v20
	v_fmac_f32_e32 v20, 0xbf75a155, v12
	v_mul_f32_e32 v14, 0x3f68dda4, v14
	v_mul_f32_e32 v72, 0x3f575c64, v8
	v_add_f32_e32 v17, v20, v17
	v_fma_f32 v20, v12, s6, -v14
	v_fmac_f32_e32 v14, 0x3ed4b147, v12
	v_sub_f32_e32 v12, v49, v16
	v_add_f32_e32 v4, v4, v12
	v_sub_f32_e32 v12, v72, v18
	v_add_f32_e32 v11, v11, v12
	v_mul_f32_e32 v12, 0xbf4178ce, v10
	v_add_f32_e32 v5, v14, v5
	v_fma_f32 v14, v8, s10, -v12
	v_fmac_f32_e32 v12, 0xbf27a4f4, v8
	v_add_f32_e32 v19, v19, v25
	v_add_f32_e32 v22, v23, v22
	;; [unrolled: 1-line block ×3, first 2 shown]
	v_mul_f32_e32 v13, 0x3f68dda4, v10
	v_mul_f32_e32 v10, 0xbf7d64f0, v10
	v_add_f32_e32 v9, v27, v9
	v_add_f32_e32 v19, v21, v19
	;; [unrolled: 1-line block ×4, first 2 shown]
	v_fma_f32 v15, v8, s6, -v13
	v_fmac_f32_e32 v13, 0x3ed4b147, v8
	v_fma_f32 v16, v8, s7, -v10
	v_fmac_f32_e32 v10, 0xbe11bafb, v8
	v_mad_u32_u24 v8, v30, 44, 0
	v_add_f32_e32 v15, v19, v15
	v_add_f32_e32 v13, v17, v13
	v_add_f32_e32 v16, v20, v16
	v_add_f32_e32 v5, v5, v10
	ds_write2_b32 v8, v9, v4 offset1:1
	ds_write2_b32 v8, v11, v14 offset0:2 offset1:3
	ds_write2_b32 v8, v15, v16 offset0:4 offset1:5
	;; [unrolled: 1-line block ×4, first 2 shown]
	ds_write_b32 v8, v29 offset:40
.LBB0_19:
	s_or_b64 exec, exec, s[4:5]
	v_add_u32_e32 v8, 0x200, v1
	s_waitcnt lgkmcnt(0)
	; wave barrier
	s_waitcnt lgkmcnt(0)
	ds_read2_b32 v[20:21], v8 offset0:103 offset1:158
	v_add_u32_e32 v8, 0x600, v1
	v_add_u32_e32 v10, 0x800, v1
	;; [unrolled: 1-line block ×4, first 2 shown]
	ds_read2_b32 v[4:5], v1 offset1:55
	ds_read2_b32 v[22:23], v8 offset0:78 offset1:133
	ds_read2_b32 v[24:25], v10 offset0:181 offset1:236
	;; [unrolled: 1-line block ×7, first 2 shown]
	v_add_u32_e32 v10, 0x1000, v1
	ds_read2_b32 v[12:13], v10 offset0:10 offset1:65
                                        ; implicit-def: $vgpr76
                                        ; implicit-def: $vgpr11
	s_and_saveexec_b64 s[2:3], vcc
	s_cbranch_execz .LBB0_21
; %bb.20:
	v_add_u32_e32 v10, 0x340, v1
	ds_read2_b32 v[28:29], v10 offset0:12 offset1:243
	v_add_u32_e32 v10, 0xa80, v1
	ds_read2_b32 v[10:11], v10 offset0:10 offset1:241
	ds_read_b32 v76, v1 offset:4576
.LBB0_21:
	s_or_b64 exec, exec, s[2:3]
	s_movk_i32 s2, 0x75
	v_mul_lo_u16_sdwa v31, v0, s2 dst_sel:DWORD dst_unused:UNUSED_PAD src0_sel:BYTE_0 src1_sel:DWORD
	v_sub_u16_sdwa v32, v0, v31 dst_sel:DWORD dst_unused:UNUSED_PAD src0_sel:DWORD src1_sel:BYTE_1
	v_lshrrev_b16_e32 v32, 1, v32
	v_and_b32_e32 v32, 0x7f, v32
	v_add_u16_sdwa v31, v32, v31 dst_sel:DWORD dst_unused:UNUSED_PAD src0_sel:DWORD src1_sel:BYTE_1
	v_lshrrev_b16_e32 v105, 3, v31
	v_mul_lo_u16_e32 v31, 11, v105
	v_sub_u16_e32 v38, v0, v31
	v_mov_b32_e32 v31, 5
	v_lshlrev_b32_sdwa v32, v31, v38 dst_sel:DWORD dst_unused:UNUSED_PAD src0_sel:DWORD src1_sel:BYTE_0
	global_load_dwordx4 v[34:37], v32, s[8:9] offset:16
	global_load_dwordx4 v[41:44], v32, s[8:9]
	v_mul_lo_u16_sdwa v32, v30, s2 dst_sel:DWORD dst_unused:UNUSED_PAD src0_sel:BYTE_0 src1_sel:DWORD
	v_sub_u16_sdwa v33, v30, v32 dst_sel:DWORD dst_unused:UNUSED_PAD src0_sel:DWORD src1_sel:BYTE_1
	v_lshrrev_b16_e32 v33, 1, v33
	v_and_b32_e32 v33, 0x7f, v33
	v_add_u16_sdwa v32, v33, v32 dst_sel:DWORD dst_unused:UNUSED_PAD src0_sel:DWORD src1_sel:BYTE_1
	v_lshrrev_b16_e32 v106, 3, v32
	v_mul_lo_u16_e32 v32, 11, v106
	v_sub_u16_e32 v39, v30, v32
	v_lshlrev_b32_sdwa v32, v31, v39 dst_sel:DWORD dst_unused:UNUSED_PAD src0_sel:DWORD src1_sel:BYTE_0
	global_load_dwordx4 v[45:48], v32, s[8:9]
	global_load_dwordx4 v[77:80], v32, s[8:9] offset:16
	v_add_u32_e32 v32, 0x6e, v0
	v_mul_lo_u16_sdwa v33, v32, s2 dst_sel:DWORD dst_unused:UNUSED_PAD src0_sel:BYTE_0 src1_sel:DWORD
	v_sub_u16_sdwa v49, v32, v33 dst_sel:DWORD dst_unused:UNUSED_PAD src0_sel:DWORD src1_sel:BYTE_1
	v_lshrrev_b16_e32 v49, 1, v49
	v_and_b32_e32 v49, 0x7f, v49
	v_add_u16_sdwa v33, v49, v33 dst_sel:DWORD dst_unused:UNUSED_PAD src0_sel:DWORD src1_sel:BYTE_1
	v_lshrrev_b16_e32 v107, 3, v33
	v_mul_lo_u16_e32 v33, 11, v107
	v_sub_u16_e32 v108, v32, v33
	v_lshlrev_b32_sdwa v33, v31, v108 dst_sel:DWORD dst_unused:UNUSED_PAD src0_sel:DWORD src1_sel:BYTE_0
	global_load_dwordx4 v[81:84], v33, s[8:9]
	global_load_dwordx4 v[85:88], v33, s[8:9] offset:16
	v_add_u32_e32 v33, 0xa5, v0
	;; [unrolled: 12-line block ×3, first 2 shown]
	s_mov_b32 s2, 0xba2f
	v_mul_u32_u24_sdwa v49, v31, s2 dst_sel:DWORD dst_unused:UNUSED_PAD src0_sel:WORD_0 src1_sel:DWORD
	v_lshrrev_b32_e32 v49, 19, v49
	v_mul_lo_u16_e32 v49, 11, v49
	v_sub_u16_e32 v111, v31, v49
	v_lshlrev_b32_e32 v49, 5, v111
	global_load_dwordx4 v[97:100], v49, s[8:9]
	global_load_dwordx4 v[101:104], v49, s[8:9] offset:16
	v_mov_b32_e32 v112, 2
	v_lshlrev_b32_sdwa v113, v112, v38 dst_sel:DWORD dst_unused:UNUSED_PAD src0_sel:DWORD src1_sel:BYTE_0
	v_lshlrev_b32_sdwa v114, v112, v39 dst_sel:DWORD dst_unused:UNUSED_PAD src0_sel:DWORD src1_sel:BYTE_0
	s_waitcnt lgkmcnt(0)
	; wave barrier
	s_waitcnt vmcnt(9) lgkmcnt(0)
	v_mul_f32_e32 v74, v24, v35
	s_waitcnt vmcnt(8)
	v_mul_f32_e32 v73, v20, v42
	v_mul_f32_e32 v42, v64, v42
	;; [unrolled: 1-line block ×3, first 2 shown]
	v_fmac_f32_e32 v73, v64, v41
	v_fma_f32 v64, v20, v41, -v42
	v_mul_f32_e32 v75, v26, v37
	v_mul_f32_e32 v37, v70, v37
	v_fmac_f32_e32 v74, v68, v34
	v_fma_f32 v68, v24, v34, -v35
	s_waitcnt vmcnt(7)
	v_mul_f32_e32 v39, v21, v46
	v_mul_f32_e32 v46, v65, v46
	;; [unrolled: 1-line block ×4, first 2 shown]
	s_waitcnt vmcnt(6)
	v_mul_f32_e32 v48, v25, v78
	v_mul_f32_e32 v78, v69, v78
	;; [unrolled: 1-line block ×4, first 2 shown]
	v_fmac_f32_e32 v75, v70, v36
	v_fma_f32 v70, v26, v36, -v37
	v_fma_f32 v34, v21, v45, -v46
	s_waitcnt vmcnt(5)
	v_mul_f32_e32 v20, v62, v82
	v_mul_f32_e32 v24, v18, v82
	v_fma_f32 v20, v18, v81, -v20
	v_mul_f32_e32 v18, v60, v84
	v_fma_f32 v36, v25, v77, -v78
	;; [unrolled: 2-line block ×3, first 2 shown]
	s_waitcnt vmcnt(4)
	v_mul_f32_e32 v16, v58, v86
	v_mul_f32_e32 v49, v27, v80
	v_mul_f32_e32 v80, v71, v80
	v_fmac_f32_e32 v72, v66, v43
	v_fma_f32 v66, v22, v43, -v44
	v_mul_f32_e32 v26, v14, v86
	v_fma_f32 v22, v14, v85, -v16
	v_mul_f32_e32 v14, v56, v88
	v_fma_f32 v35, v23, v47, -v115
	v_fma_f32 v37, v27, v79, -v80
	v_mul_f32_e32 v27, v12, v88
	v_fma_f32 v23, v12, v87, -v14
	s_waitcnt vmcnt(3)
	v_mul_f32_e32 v12, v63, v90
	s_waitcnt vmcnt(1)
	v_mul_f32_e32 v44, v29, v98
	v_mul_f32_e32 v16, v19, v90
	v_fma_f32 v12, v19, v89, -v12
	v_mul_f32_e32 v14, v61, v92
	v_mul_f32_e32 v19, v59, v94
	;; [unrolled: 1-line block ×3, first 2 shown]
	v_fmac_f32_e32 v44, v7, v97
	v_mul_f32_e32 v7, v7, v98
	v_mul_f32_e32 v18, v17, v92
	v_fma_f32 v14, v17, v91, -v14
	v_mul_f32_e32 v17, v15, v94
	v_fma_f32 v15, v15, v93, -v19
	;; [unrolled: 2-line block ×3, first 2 shown]
	v_fma_f32 v41, v29, v97, -v7
	v_mul_f32_e32 v7, v54, v100
	v_fmac_f32_e32 v39, v65, v45
	v_mul_f32_e32 v45, v10, v100
	v_fma_f32 v42, v10, v99, -v7
	v_add_f32_e32 v10, v72, v74
	s_waitcnt vmcnt(0)
	v_mul_f32_e32 v7, v55, v102
	v_fma_f32 v10, -0.5, v10, v52
	v_mul_f32_e32 v46, v11, v102
	v_fma_f32 v43, v11, v101, -v7
	v_sub_f32_e32 v11, v64, v70
	v_mov_b32_e32 v29, v10
	v_fmac_f32_e32 v19, v57, v95
	v_fmac_f32_e32 v45, v54, v99
	;; [unrolled: 1-line block ×4, first 2 shown]
	v_sub_f32_e32 v54, v66, v68
	v_sub_f32_e32 v55, v73, v72
	;; [unrolled: 1-line block ×3, first 2 shown]
	v_fmac_f32_e32 v10, 0x3f737871, v11
	v_fmac_f32_e32 v29, 0xbf167918, v54
	v_add_f32_e32 v55, v55, v57
	v_fmac_f32_e32 v10, 0x3f167918, v54
	v_fmac_f32_e32 v29, 0x3e9e377a, v55
	;; [unrolled: 1-line block ×3, first 2 shown]
	v_add_f32_e32 v55, v73, v75
	v_fma_f32 v55, -0.5, v55, v52
	v_fmac_f32_e32 v38, v67, v47
	v_mul_f32_e32 v47, v76, v104
	v_mul_f32_e32 v7, v40, v104
	v_mov_b32_e32 v57, v55
	v_fmac_f32_e32 v26, v58, v85
	v_fmac_f32_e32 v47, v40, v103
	v_fma_f32 v40, v76, v103, -v7
	v_add_f32_e32 v7, v52, v73
	v_fmac_f32_e32 v57, 0x3f737871, v54
	v_sub_f32_e32 v52, v72, v73
	v_sub_f32_e32 v58, v74, v75
	v_fmac_f32_e32 v55, 0xbf737871, v54
	v_fmac_f32_e32 v48, v69, v77
	;; [unrolled: 1-line block ×3, first 2 shown]
	v_add_f32_e32 v52, v52, v58
	v_fmac_f32_e32 v55, 0x3f167918, v11
	v_fmac_f32_e32 v57, 0x3e9e377a, v52
	;; [unrolled: 1-line block ×3, first 2 shown]
	v_add_f32_e32 v52, v38, v48
	v_fma_f32 v58, -0.5, v52, v53
	v_fmac_f32_e32 v49, v71, v79
	v_fmac_f32_e32 v17, v59, v93
	v_sub_f32_e32 v52, v34, v37
	v_mov_b32_e32 v59, v58
	v_fmac_f32_e32 v25, v60, v83
	v_fmac_f32_e32 v18, v61, v91
	v_fmac_f32_e32 v59, 0xbf737871, v52
	v_sub_f32_e32 v54, v35, v36
	v_sub_f32_e32 v60, v39, v38
	;; [unrolled: 1-line block ×3, first 2 shown]
	v_fmac_f32_e32 v58, 0x3f737871, v52
	v_fmac_f32_e32 v59, 0xbf167918, v54
	v_add_f32_e32 v60, v60, v61
	v_fmac_f32_e32 v58, 0x3f167918, v54
	v_fmac_f32_e32 v59, 0x3e9e377a, v60
	;; [unrolled: 1-line block ×3, first 2 shown]
	v_add_f32_e32 v60, v39, v49
	v_add_f32_e32 v11, v53, v39
	v_fmac_f32_e32 v53, -0.5, v60
	v_mov_b32_e32 v60, v53
	v_fmac_f32_e32 v24, v62, v81
	v_fmac_f32_e32 v60, 0x3f737871, v54
	;; [unrolled: 1-line block ×5, first 2 shown]
	v_add_f32_e32 v52, v50, v24
	v_sub_f32_e32 v61, v38, v39
	v_sub_f32_e32 v62, v48, v49
	v_add_f32_e32 v52, v52, v25
	v_fmac_f32_e32 v27, v56, v87
	v_add_f32_e32 v61, v61, v62
	v_add_f32_e32 v52, v52, v26
	v_fmac_f32_e32 v60, 0x3e9e377a, v61
	v_fmac_f32_e32 v53, 0x3e9e377a, v61
	v_add_f32_e32 v61, v52, v27
	v_add_f32_e32 v52, v25, v26
	v_fma_f32 v62, -0.5, v52, v50
	v_fmac_f32_e32 v16, v63, v89
	v_sub_f32_e32 v52, v20, v23
	v_mov_b32_e32 v63, v62
	v_fmac_f32_e32 v63, 0xbf737871, v52
	v_sub_f32_e32 v54, v21, v22
	v_sub_f32_e32 v67, v24, v25
	;; [unrolled: 1-line block ×3, first 2 shown]
	v_fmac_f32_e32 v62, 0x3f737871, v52
	v_fmac_f32_e32 v63, 0xbf167918, v54
	v_add_f32_e32 v67, v67, v69
	v_fmac_f32_e32 v62, 0x3f167918, v54
	v_fmac_f32_e32 v63, 0x3e9e377a, v67
	;; [unrolled: 1-line block ×3, first 2 shown]
	v_add_f32_e32 v67, v24, v27
	v_fma_f32 v50, -0.5, v67, v50
	v_mov_b32_e32 v67, v50
	v_fmac_f32_e32 v67, 0x3f737871, v54
	v_fmac_f32_e32 v50, 0xbf737871, v54
	;; [unrolled: 1-line block ×4, first 2 shown]
	v_add_f32_e32 v52, v51, v16
	v_sub_f32_e32 v69, v25, v24
	v_sub_f32_e32 v71, v26, v27
	v_add_f32_e32 v52, v52, v18
	v_add_f32_e32 v69, v69, v71
	;; [unrolled: 1-line block ×3, first 2 shown]
	v_fmac_f32_e32 v67, 0x3e9e377a, v69
	v_fmac_f32_e32 v50, 0x3e9e377a, v69
	v_add_f32_e32 v69, v52, v19
	v_add_f32_e32 v52, v18, v17
	v_fma_f32 v71, -0.5, v52, v51
	v_sub_f32_e32 v52, v12, v13
	v_mov_b32_e32 v76, v71
	v_fmac_f32_e32 v76, 0xbf737871, v52
	v_sub_f32_e32 v54, v14, v15
	v_sub_f32_e32 v77, v16, v18
	;; [unrolled: 1-line block ×3, first 2 shown]
	v_fmac_f32_e32 v71, 0x3f737871, v52
	v_fmac_f32_e32 v76, 0xbf167918, v54
	v_add_f32_e32 v77, v77, v78
	v_fmac_f32_e32 v71, 0x3f167918, v54
	v_fmac_f32_e32 v76, 0x3e9e377a, v77
	v_fmac_f32_e32 v71, 0x3e9e377a, v77
	v_add_f32_e32 v77, v16, v19
	v_fmac_f32_e32 v51, -0.5, v77
	v_mov_b32_e32 v77, v51
	v_add_f32_e32 v7, v7, v72
	v_fmac_f32_e32 v77, 0x3f737871, v54
	v_fmac_f32_e32 v51, 0xbf737871, v54
	v_add_f32_e32 v7, v7, v74
	v_fmac_f32_e32 v77, 0xbf167918, v52
	v_fmac_f32_e32 v51, 0x3f167918, v52
	v_mul_u32_u24_e32 v52, 0xdc, v105
	v_add_f32_e32 v7, v7, v75
	v_add_f32_e32 v11, v11, v38
	v_add3_u32 v52, 0, v52, v113
	v_add_f32_e32 v11, v11, v48
	ds_write2_b32 v52, v7, v29 offset1:11
	ds_write2_b32 v52, v57, v55 offset0:22 offset1:33
	ds_write_b32 v52, v10 offset:176
	v_mul_u32_u24_e32 v7, 0xdc, v106
	v_lshlrev_b32_sdwa v65, v112, v108 dst_sel:DWORD dst_unused:UNUSED_PAD src0_sel:DWORD src1_sel:BYTE_0
	v_add_f32_e32 v11, v11, v49
	v_add3_u32 v54, 0, v7, v114
	v_mul_u32_u24_e32 v7, 0xdc, v107
	v_lshlrev_b32_sdwa v56, v112, v110 dst_sel:DWORD dst_unused:UNUSED_PAD src0_sel:DWORD src1_sel:BYTE_0
	v_sub_f32_e32 v78, v18, v16
	v_sub_f32_e32 v79, v17, v19
	ds_write2_b32 v54, v11, v59 offset1:11
	ds_write2_b32 v54, v60, v53 offset0:22 offset1:33
	ds_write_b32 v54, v58 offset:176
	v_add3_u32 v53, 0, v7, v65
	v_mul_u32_u24_e32 v7, 0xdc, v109
	v_add_f32_e32 v78, v78, v79
	ds_write2_b32 v53, v61, v63 offset1:11
	ds_write2_b32 v53, v67, v50 offset0:22 offset1:33
	ds_write_b32 v53, v62 offset:176
	v_add3_u32 v55, 0, v7, v56
	v_lshl_add_u32 v50, v111, 2, 0
	v_fmac_f32_e32 v77, 0x3e9e377a, v78
	v_fmac_f32_e32 v51, 0x3e9e377a, v78
	ds_write2_b32 v55, v69, v76 offset1:11
	ds_write2_b32 v55, v77, v51 offset0:22 offset1:33
	ds_write_b32 v55, v71 offset:176
	s_and_saveexec_b64 s[2:3], vcc
	s_cbranch_execz .LBB0_23
; %bb.22:
	v_add_f32_e32 v11, v44, v47
	v_fma_f32 v11, -0.5, v11, v6
	v_sub_f32_e32 v7, v45, v44
	v_sub_f32_e32 v10, v46, v47
	v_sub_f32_e32 v29, v42, v43
	v_mov_b32_e32 v51, v11
	v_add_f32_e32 v7, v7, v10
	v_sub_f32_e32 v10, v41, v40
	v_fmac_f32_e32 v51, 0xbf737871, v29
	v_fmac_f32_e32 v11, 0x3f737871, v29
	;; [unrolled: 1-line block ×6, first 2 shown]
	v_sub_f32_e32 v7, v44, v45
	v_sub_f32_e32 v56, v47, v46
	v_add_f32_e32 v7, v7, v56
	v_add_f32_e32 v56, v45, v46
	v_fma_f32 v56, -0.5, v56, v6
	v_mov_b32_e32 v57, v56
	v_add_f32_e32 v6, v6, v44
	v_fmac_f32_e32 v57, 0x3f737871, v10
	v_fmac_f32_e32 v56, 0xbf737871, v10
	v_add_f32_e32 v6, v6, v45
	v_fmac_f32_e32 v57, 0x3f167918, v29
	v_fmac_f32_e32 v56, 0xbf167918, v29
	;; [unrolled: 3-line block ×3, first 2 shown]
	v_add_f32_e32 v6, v6, v47
	v_add_u32_e32 v7, 0x1000, v50
	ds_write2_b32 v7, v6, v56 offset0:76 offset1:87
	ds_write2_b32 v7, v11, v51 offset0:98 offset1:109
	ds_write_b32 v50, v57 offset:4576
.LBB0_23:
	s_or_b64 exec, exec, s[2:3]
	v_add_f32_e32 v6, v4, v64
	v_add_f32_e32 v6, v6, v66
	;; [unrolled: 1-line block ×5, first 2 shown]
	v_fma_f32 v56, -0.5, v6, v4
	v_sub_f32_e32 v6, v73, v75
	v_mov_b32_e32 v57, v56
	v_fmac_f32_e32 v57, 0x3f737871, v6
	v_sub_f32_e32 v7, v72, v74
	v_sub_f32_e32 v10, v64, v66
	;; [unrolled: 1-line block ×3, first 2 shown]
	v_fmac_f32_e32 v56, 0xbf737871, v6
	v_fmac_f32_e32 v57, 0x3f167918, v7
	v_add_f32_e32 v10, v10, v11
	v_fmac_f32_e32 v56, 0xbf167918, v7
	v_fmac_f32_e32 v57, 0x3e9e377a, v10
	v_fmac_f32_e32 v56, 0x3e9e377a, v10
	v_add_f32_e32 v10, v64, v70
	v_fma_f32 v58, -0.5, v10, v4
	v_mov_b32_e32 v59, v58
	v_fmac_f32_e32 v59, 0xbf737871, v7
	v_sub_f32_e32 v4, v66, v64
	v_sub_f32_e32 v10, v68, v70
	v_fmac_f32_e32 v58, 0x3f737871, v7
	v_fmac_f32_e32 v59, 0x3f167918, v6
	v_add_f32_e32 v4, v4, v10
	v_fmac_f32_e32 v58, 0xbf167918, v6
	v_fmac_f32_e32 v59, 0x3e9e377a, v4
	;; [unrolled: 1-line block ×3, first 2 shown]
	v_add_f32_e32 v4, v5, v34
	v_add_f32_e32 v4, v4, v35
	;; [unrolled: 1-line block ×5, first 2 shown]
	v_fma_f32 v61, -0.5, v4, v5
	v_sub_f32_e32 v4, v39, v49
	v_mov_b32_e32 v49, v61
	v_fmac_f32_e32 v49, 0x3f737871, v4
	v_sub_f32_e32 v6, v38, v48
	v_sub_f32_e32 v7, v34, v35
	;; [unrolled: 1-line block ×3, first 2 shown]
	v_fmac_f32_e32 v61, 0xbf737871, v4
	v_fmac_f32_e32 v49, 0x3f167918, v6
	v_add_f32_e32 v7, v7, v10
	v_fmac_f32_e32 v61, 0xbf167918, v6
	v_fmac_f32_e32 v49, 0x3e9e377a, v7
	;; [unrolled: 1-line block ×3, first 2 shown]
	v_add_f32_e32 v7, v34, v37
	v_fmac_f32_e32 v5, -0.5, v7
	v_mov_b32_e32 v48, v5
	v_fmac_f32_e32 v48, 0xbf737871, v6
	v_fmac_f32_e32 v5, 0x3f737871, v6
	;; [unrolled: 1-line block ×4, first 2 shown]
	v_add_f32_e32 v4, v8, v20
	v_add_f32_e32 v4, v4, v21
	;; [unrolled: 1-line block ×5, first 2 shown]
	v_sub_f32_e32 v7, v35, v34
	v_sub_f32_e32 v10, v36, v37
	v_fma_f32 v63, -0.5, v4, v8
	v_add_f32_e32 v7, v7, v10
	v_sub_f32_e32 v4, v24, v27
	v_mov_b32_e32 v64, v63
	v_fmac_f32_e32 v48, 0x3e9e377a, v7
	v_fmac_f32_e32 v5, 0x3e9e377a, v7
	;; [unrolled: 1-line block ×3, first 2 shown]
	v_sub_f32_e32 v6, v25, v26
	v_sub_f32_e32 v7, v20, v21
	;; [unrolled: 1-line block ×3, first 2 shown]
	v_fmac_f32_e32 v63, 0xbf737871, v4
	v_fmac_f32_e32 v64, 0x3f167918, v6
	v_add_f32_e32 v7, v7, v10
	v_fmac_f32_e32 v63, 0xbf167918, v6
	v_fmac_f32_e32 v64, 0x3e9e377a, v7
	;; [unrolled: 1-line block ×3, first 2 shown]
	v_add_f32_e32 v7, v20, v23
	v_fma_f32 v65, -0.5, v7, v8
	v_mov_b32_e32 v66, v65
	v_fmac_f32_e32 v66, 0xbf737871, v6
	v_fmac_f32_e32 v65, 0x3f737871, v6
	;; [unrolled: 1-line block ×4, first 2 shown]
	v_add_f32_e32 v4, v9, v12
	v_add_f32_e32 v4, v4, v14
	;; [unrolled: 1-line block ×5, first 2 shown]
	v_sub_f32_e32 v7, v21, v20
	v_sub_f32_e32 v8, v22, v23
	v_fma_f32 v68, -0.5, v4, v9
	v_add_f32_e32 v7, v7, v8
	v_sub_f32_e32 v4, v16, v19
	v_mov_b32_e32 v69, v68
	v_fmac_f32_e32 v66, 0x3e9e377a, v7
	v_fmac_f32_e32 v65, 0x3e9e377a, v7
	;; [unrolled: 1-line block ×3, first 2 shown]
	v_sub_f32_e32 v6, v18, v17
	v_sub_f32_e32 v7, v12, v14
	;; [unrolled: 1-line block ×3, first 2 shown]
	v_fmac_f32_e32 v68, 0xbf737871, v4
	v_fmac_f32_e32 v69, 0x3f167918, v6
	v_add_f32_e32 v7, v7, v8
	v_fmac_f32_e32 v68, 0xbf167918, v6
	v_fmac_f32_e32 v69, 0x3e9e377a, v7
	;; [unrolled: 1-line block ×3, first 2 shown]
	v_add_f32_e32 v7, v12, v13
	v_fmac_f32_e32 v9, -0.5, v7
	v_mov_b32_e32 v70, v9
	v_fmac_f32_e32 v70, 0xbf737871, v6
	v_sub_f32_e32 v7, v14, v12
	v_sub_f32_e32 v8, v15, v13
	v_fmac_f32_e32 v9, 0x3f737871, v6
	v_fmac_f32_e32 v70, 0x3f167918, v4
	v_add_f32_e32 v7, v7, v8
	v_fmac_f32_e32 v9, 0xbf167918, v4
	v_lshl_add_u32 v29, v0, 2, 0
	v_add_u32_e32 v4, 0x600, v1
	v_add_u32_e32 v34, 0x800, v1
	;; [unrolled: 1-line block ×7, first 2 shown]
	v_fmac_f32_e32 v70, 0x3e9e377a, v7
	v_fmac_f32_e32 v9, 0x3e9e377a, v7
	s_waitcnt lgkmcnt(0)
	; wave barrier
	s_waitcnt lgkmcnt(0)
	ds_read2_b32 v[10:11], v1 offset1:55
	ds_read2_b32 v[6:7], v1 offset0:110 offset1:165
	ds_read_b32 v8, v29 offset:1320
	ds_read2_b32 v[24:25], v4 offset0:111 offset1:166
	ds_read2_b32 v[16:17], v34 offset0:93 offset1:148
	;; [unrolled: 1-line block ×8, first 2 shown]
	s_waitcnt lgkmcnt(0)
	; wave barrier
	s_waitcnt lgkmcnt(0)
	ds_write2_b32 v52, v51, v57 offset1:11
	ds_write2_b32 v52, v59, v58 offset0:22 offset1:33
	ds_write_b32 v52, v56 offset:176
	ds_write2_b32 v54, v60, v49 offset1:11
	ds_write2_b32 v54, v48, v5 offset0:22 offset1:33
	ds_write_b32 v54, v61 offset:176
	;; [unrolled: 3-line block ×4, first 2 shown]
	s_and_saveexec_b64 s[2:3], vcc
	s_cbranch_execz .LBB0_25
; %bb.24:
	v_add_f32_e32 v9, v42, v43
	v_fma_f32 v9, -0.5, v9, v28
	v_sub_f32_e32 v44, v44, v47
	v_mov_b32_e32 v47, v9
	v_fmac_f32_e32 v47, 0x3f737871, v44
	v_sub_f32_e32 v45, v45, v46
	v_sub_f32_e32 v46, v41, v42
	;; [unrolled: 1-line block ×3, first 2 shown]
	v_fmac_f32_e32 v9, 0xbf737871, v44
	v_fmac_f32_e32 v47, 0x3f167918, v45
	v_add_f32_e32 v46, v46, v48
	v_fmac_f32_e32 v9, 0xbf167918, v45
	v_add_f32_e32 v5, v28, v41
	v_fmac_f32_e32 v47, 0x3e9e377a, v46
	v_fmac_f32_e32 v9, 0x3e9e377a, v46
	v_add_f32_e32 v46, v41, v40
	v_add_f32_e32 v5, v5, v42
	v_fmac_f32_e32 v28, -0.5, v46
	v_add_f32_e32 v5, v5, v43
	v_mov_b32_e32 v46, v28
	v_add_f32_e32 v5, v5, v40
	v_fmac_f32_e32 v46, 0xbf737871, v45
	v_sub_f32_e32 v41, v42, v41
	v_sub_f32_e32 v40, v43, v40
	v_fmac_f32_e32 v28, 0x3f737871, v45
	v_fmac_f32_e32 v46, 0x3f167918, v44
	v_add_f32_e32 v40, v41, v40
	v_fmac_f32_e32 v28, 0xbf167918, v44
	v_fmac_f32_e32 v46, 0x3e9e377a, v40
	;; [unrolled: 1-line block ×3, first 2 shown]
	v_add_u32_e32 v40, 0x1000, v50
	ds_write2_b32 v40, v5, v47 offset0:76 offset1:87
	ds_write2_b32 v40, v46, v28 offset0:98 offset1:109
	ds_write_b32 v50, v9 offset:4576
.LBB0_25:
	s_or_b64 exec, exec, s[2:3]
	v_mul_u32_u24_e32 v5, 6, v0
	v_lshlrev_b32_e32 v5, 3, v5
	s_movk_i32 s2, 0x95
	s_waitcnt lgkmcnt(0)
	; wave barrier
	s_waitcnt lgkmcnt(0)
	global_load_dwordx4 v[40:43], v5, s[8:9] offset:352
	global_load_dwordx4 v[44:47], v5, s[8:9] offset:368
	;; [unrolled: 1-line block ×3, first 2 shown]
	v_mul_lo_u16_sdwa v5, v32, s2 dst_sel:DWORD dst_unused:UNUSED_PAD src0_sel:BYTE_0 src1_sel:DWORD
	v_lshrrev_b16_e32 v5, 13, v5
	v_mul_lo_u16_e32 v5, 55, v5
	v_sub_u16_e32 v5, v32, v5
	v_and_b32_e32 v5, 0xff, v5
	v_mul_u32_u24_e32 v9, 6, v5
	v_lshlrev_b32_e32 v9, 3, v9
	global_load_dwordx4 v[52:55], v9, s[8:9] offset:352
	global_load_dwordx4 v[56:59], v9, s[8:9] offset:368
	;; [unrolled: 1-line block ×3, first 2 shown]
	ds_read2_b32 v[64:65], v1 offset1:55
	ds_read2_b32 v[66:67], v1 offset0:110 offset1:165
	ds_read_b32 v9, v29 offset:1320
	ds_read2_b32 v[68:69], v4 offset0:111 offset1:166
	ds_read2_b32 v[70:71], v34 offset0:93 offset1:148
	;; [unrolled: 1-line block ×8, first 2 shown]
	s_mov_b32 s2, 0xbf5ff5aa
	s_mov_b32 s3, 0x3f3bfb3b
	;; [unrolled: 1-line block ×4, first 2 shown]
	v_lshl_add_u32 v5, v5, 2, 0
	s_waitcnt lgkmcnt(0)
	; wave barrier
	s_waitcnt vmcnt(5) lgkmcnt(0)
	v_mul_f32_e32 v28, v67, v41
	v_mul_f32_e32 v84, v7, v41
	;; [unrolled: 1-line block ×4, first 2 shown]
	s_waitcnt vmcnt(4)
	v_mul_f32_e32 v87, v68, v45
	v_mul_f32_e32 v88, v24, v45
	s_waitcnt vmcnt(3)
	v_mul_f32_e32 v91, v72, v49
	v_mul_f32_e32 v93, v75, v51
	;; [unrolled: 1-line block ×12, first 2 shown]
	v_fmac_f32_e32 v28, v7, v40
	v_fma_f32 v7, v67, v40, -v84
	v_fmac_f32_e32 v85, v8, v42
	v_fma_f32 v8, v9, v42, -v86
	;; [unrolled: 2-line block ×3, first 2 shown]
	v_fmac_f32_e32 v91, v26, v48
	v_fmac_f32_e32 v93, v13, v50
	v_fma_f32 v13, v75, v50, -v94
	v_fmac_f32_e32 v96, v22, v42
	v_fma_f32 v22, v78, v42, -v43
	;; [unrolled: 2-line block ×3, first 2 shown]
	s_waitcnt vmcnt(1)
	v_mul_f32_e32 v43, v70, v57
	v_mul_f32_e32 v44, v16, v57
	v_mul_f32_e32 v99, v73, v49
	v_mul_f32_e32 v49, v27, v49
	v_fmac_f32_e32 v89, v17, v46
	v_fma_f32 v17, v71, v46, -v90
	v_fma_f32 v24, v72, v48, -v92
	v_fmac_f32_e32 v98, v18, v46
	v_fma_f32 v18, v80, v46, -v47
	v_fmac_f32_e32 v43, v16, v56
	v_fma_f32 v16, v70, v56, -v44
	v_add_f32_e32 v44, v28, v93
	v_add_f32_e32 v46, v7, v13
	v_sub_f32_e32 v7, v7, v13
	v_add_f32_e32 v13, v85, v91
	v_mul_f32_e32 v95, v76, v41
	v_mul_f32_e32 v41, v20, v41
	;; [unrolled: 1-line block ×4, first 2 shown]
	v_fma_f32 v26, v73, v48, -v49
	v_add_f32_e32 v47, v8, v24
	v_sub_f32_e32 v8, v8, v24
	v_add_f32_e32 v24, v87, v89
	v_add_f32_e32 v49, v9, v17
	v_sub_f32_e32 v9, v17, v9
	v_add_f32_e32 v17, v13, v44
	v_fmac_f32_e32 v95, v20, v40
	v_fma_f32 v20, v76, v40, -v41
	v_fmac_f32_e32 v99, v27, v48
	v_fmac_f32_e32 v100, v14, v50
	v_fma_f32 v14, v82, v50, -v51
	v_mul_f32_e32 v27, v77, v53
	v_mul_f32_e32 v40, v21, v53
	v_add_f32_e32 v51, v47, v46
	v_add_f32_e32 v17, v24, v17
	v_mul_f32_e32 v41, v79, v55
	v_mul_f32_e32 v42, v23, v55
	;; [unrolled: 1-line block ×3, first 2 shown]
	v_fmac_f32_e32 v27, v21, v52
	v_fma_f32 v21, v77, v52, -v40
	v_sub_f32_e32 v28, v28, v93
	v_sub_f32_e32 v48, v85, v91
	;; [unrolled: 1-line block ×6, first 2 shown]
	v_add_f32_e32 v24, v49, v51
	v_add_f32_e32 v10, v10, v17
	v_fmac_f32_e32 v41, v23, v54
	v_fma_f32 v23, v79, v54, -v42
	v_fmac_f32_e32 v45, v19, v58
	v_mul_f32_e32 v19, v19, v59
	v_sub_f32_e32 v53, v47, v46
	v_sub_f32_e32 v46, v46, v49
	;; [unrolled: 1-line block ×3, first 2 shown]
	v_add_f32_e32 v54, v50, v48
	v_add_f32_e32 v55, v9, v8
	v_sub_f32_e32 v56, v50, v48
	v_sub_f32_e32 v57, v9, v8
	;; [unrolled: 1-line block ×3, first 2 shown]
	v_add_f32_e32 v49, v64, v24
	v_mov_b32_e32 v59, v10
	v_sub_f32_e32 v50, v28, v50
	v_sub_f32_e32 v9, v7, v9
	;; [unrolled: 1-line block ×3, first 2 shown]
	v_add_f32_e32 v7, v55, v7
	v_mul_f32_e32 v44, 0x3f4a47b2, v44
	v_mul_f32_e32 v46, 0x3f4a47b2, v46
	;; [unrolled: 1-line block ×6, first 2 shown]
	v_fmac_f32_e32 v59, 0xbf955555, v17
	v_mov_b32_e32 v17, v49
	v_fma_f32 v19, v81, v58, -v19
	v_add_f32_e32 v28, v54, v28
	v_mul_f32_e32 v54, 0x3d64c772, v47
	v_mul_f32_e32 v58, 0xbf5ff5aa, v8
	v_fmac_f32_e32 v17, 0xbf955555, v24
	v_fma_f32 v24, v52, s3, -v51
	v_fma_f32 v52, v52, s4, -v44
	v_fmac_f32_e32 v44, 0x3d64c772, v13
	v_fma_f32 v13, v53, s4, -v46
	v_fmac_f32_e32 v46, 0x3d64c772, v47
	;; [unrolled: 2-line block ×4, first 2 shown]
	v_fma_f32 v48, v50, s5, -v57
	v_fma_f32 v51, v53, s3, -v54
	;; [unrolled: 1-line block ×3, first 2 shown]
	v_add_f32_e32 v44, v44, v59
	v_add_f32_e32 v46, v46, v17
	;; [unrolled: 1-line block ×4, first 2 shown]
	v_fmac_f32_e32 v55, 0xbee1c552, v28
	v_fmac_f32_e32 v56, 0xbee1c552, v7
	;; [unrolled: 1-line block ×4, first 2 shown]
	v_add_f32_e32 v50, v51, v17
	v_add_f32_e32 v51, v52, v59
	v_fmac_f32_e32 v47, 0xbee1c552, v28
	v_fmac_f32_e32 v9, 0xbee1c552, v7
	v_add_f32_e32 v7, v56, v44
	v_sub_f32_e32 v28, v46, v55
	v_sub_f32_e32 v52, v13, v48
	;; [unrolled: 1-line block ×3, first 2 shown]
	v_add_f32_e32 v8, v8, v24
	v_add_f32_e32 v48, v48, v13
	v_sub_f32_e32 v13, v44, v56
	v_add_f32_e32 v44, v55, v46
	v_add_f32_e32 v24, v95, v100
	;; [unrolled: 1-line block ×3, first 2 shown]
	v_sub_f32_e32 v14, v20, v14
	v_add_f32_e32 v20, v96, v99
	v_add_f32_e32 v17, v9, v51
	v_sub_f32_e32 v9, v51, v9
	v_add_f32_e32 v51, v22, v26
	v_sub_f32_e32 v22, v22, v26
	v_add_f32_e32 v26, v97, v98
	v_add_f32_e32 v56, v25, v18
	v_sub_f32_e32 v18, v18, v25
	v_add_f32_e32 v25, v20, v24
	s_waitcnt vmcnt(0)
	v_mul_f32_e32 v40, v74, v61
	v_mul_f32_e32 v42, v83, v63
	v_add_f32_e32 v58, v51, v46
	v_add_f32_e32 v25, v26, v25
	v_fmac_f32_e32 v40, v12, v60
	v_mul_f32_e32 v12, v12, v61
	v_fmac_f32_e32 v42, v15, v62
	v_mul_f32_e32 v15, v15, v63
	v_add_f32_e32 v54, v47, v50
	v_sub_f32_e32 v47, v50, v47
	v_sub_f32_e32 v50, v95, v100
	;; [unrolled: 1-line block ×7, first 2 shown]
	v_add_f32_e32 v26, v56, v58
	v_add_f32_e32 v11, v11, v25
	v_fma_f32 v12, v74, v60, -v12
	v_fma_f32 v15, v83, v62, -v15
	v_sub_f32_e32 v60, v51, v46
	v_sub_f32_e32 v46, v46, v56
	;; [unrolled: 1-line block ×3, first 2 shown]
	v_add_f32_e32 v61, v57, v55
	v_add_f32_e32 v62, v18, v22
	v_sub_f32_e32 v63, v57, v55
	v_sub_f32_e32 v64, v18, v22
	;; [unrolled: 1-line block ×3, first 2 shown]
	v_add_f32_e32 v56, v65, v26
	v_mov_b32_e32 v67, v11
	v_sub_f32_e32 v57, v50, v57
	v_sub_f32_e32 v18, v14, v18
	;; [unrolled: 1-line block ×3, first 2 shown]
	v_add_f32_e32 v14, v62, v14
	v_mul_f32_e32 v24, 0x3f4a47b2, v24
	v_mul_f32_e32 v46, 0x3f4a47b2, v46
	;; [unrolled: 1-line block ×6, first 2 shown]
	v_fmac_f32_e32 v67, 0xbf955555, v25
	v_mov_b32_e32 v25, v56
	v_add_f32_e32 v50, v61, v50
	v_mul_f32_e32 v61, 0x3d64c772, v51
	v_mul_f32_e32 v65, 0xbf5ff5aa, v22
	v_fmac_f32_e32 v25, 0xbf955555, v26
	v_fma_f32 v26, v59, s3, -v58
	v_fma_f32 v59, v59, s4, -v24
	v_fmac_f32_e32 v24, 0x3d64c772, v20
	v_fma_f32 v20, v60, s4, -v46
	v_fmac_f32_e32 v46, 0x3d64c772, v51
	v_fma_f32 v51, v55, s2, -v62
	v_fma_f32 v22, v22, s2, -v63
	v_fmac_f32_e32 v63, 0xbeae86e6, v18
	v_fma_f32 v55, v57, s5, -v64
	v_fma_f32 v58, v60, s3, -v61
	;; [unrolled: 1-line block ×3, first 2 shown]
	v_add_f32_e32 v24, v24, v67
	v_add_f32_e32 v26, v26, v67
	;; [unrolled: 1-line block ×3, first 2 shown]
	v_fmac_f32_e32 v63, 0xbee1c552, v14
	v_fmac_f32_e32 v22, 0xbee1c552, v14
	;; [unrolled: 1-line block ×4, first 2 shown]
	v_add_f32_e32 v57, v58, v25
	v_add_f32_e32 v58, v59, v67
	v_fmac_f32_e32 v18, 0xbee1c552, v14
	v_add_f32_e32 v14, v63, v24
	v_sub_f32_e32 v59, v20, v55
	v_sub_f32_e32 v60, v26, v22
	v_add_f32_e32 v22, v22, v26
	v_add_f32_e32 v55, v55, v20
	v_sub_f32_e32 v20, v24, v63
	v_add_f32_e32 v24, v27, v42
	v_add_f32_e32 v26, v21, v15
	v_sub_f32_e32 v15, v21, v15
	v_add_f32_e32 v21, v41, v40
	v_sub_f32_e32 v27, v27, v42
	;; [unrolled: 2-line block ×3, first 2 shown]
	v_sub_f32_e32 v12, v23, v12
	v_add_f32_e32 v23, v43, v45
	v_add_f32_e32 v41, v16, v19
	v_sub_f32_e32 v16, v19, v16
	v_add_f32_e32 v19, v21, v24
	v_fmac_f32_e32 v51, 0xbee1c552, v50
	v_sub_f32_e32 v43, v45, v43
	v_add_f32_e32 v45, v42, v26
	v_add_f32_e32 v19, v23, v19
	v_add_f32_e32 v61, v51, v57
	v_sub_f32_e32 v51, v57, v51
	v_sub_f32_e32 v57, v21, v24
	;; [unrolled: 1-line block ×4, first 2 shown]
	v_add_f32_e32 v23, v41, v45
	v_add_f32_e32 v6, v6, v19
	;; [unrolled: 1-line block ×3, first 2 shown]
	v_fmac_f32_e32 v62, 0xbee1c552, v50
	v_add_f32_e32 v25, v18, v58
	v_sub_f32_e32 v18, v58, v18
	v_sub_f32_e32 v58, v42, v26
	;; [unrolled: 1-line block ×4, first 2 shown]
	v_add_f32_e32 v63, v16, v12
	v_sub_f32_e32 v64, v43, v40
	v_sub_f32_e32 v65, v16, v12
	v_add_f32_e32 v41, v66, v23
	v_mov_b32_e32 v67, v6
	v_sub_f32_e32 v50, v46, v62
	v_add_f32_e32 v46, v62, v46
	v_add_f32_e32 v62, v43, v40
	v_sub_f32_e32 v16, v15, v16
	v_sub_f32_e32 v40, v40, v27
	;; [unrolled: 1-line block ×3, first 2 shown]
	v_add_f32_e32 v15, v63, v15
	v_mul_f32_e32 v24, 0x3f4a47b2, v24
	v_mul_f32_e32 v45, 0x3d64c772, v21
	;; [unrolled: 1-line block ×4, first 2 shown]
	v_fmac_f32_e32 v67, 0xbf955555, v19
	v_mov_b32_e32 v19, v41
	v_sub_f32_e32 v43, v27, v43
	v_add_f32_e32 v27, v62, v27
	v_mul_f32_e32 v26, 0x3f4a47b2, v26
	v_mul_f32_e32 v62, 0x3d64c772, v42
	;; [unrolled: 1-line block ×4, first 2 shown]
	v_fmac_f32_e32 v19, 0xbf955555, v23
	v_fma_f32 v23, v57, s3, -v45
	v_fma_f32 v57, v57, s4, -v24
	v_fmac_f32_e32 v24, 0x3d64c772, v21
	v_fma_f32 v12, v12, s2, -v64
	v_fmac_f32_e32 v64, 0xbeae86e6, v16
	v_fma_f32 v45, v58, s3, -v62
	v_fma_f32 v21, v58, s4, -v26
	v_fmac_f32_e32 v26, 0x3d64c772, v42
	v_fma_f32 v42, v43, s5, -v65
	v_fma_f32 v16, v16, s5, -v66
	v_add_f32_e32 v24, v24, v67
	v_fmac_f32_e32 v64, 0xbee1c552, v15
	v_fma_f32 v40, v40, s2, -v63
	v_fmac_f32_e32 v63, 0xbeae86e6, v43
	v_add_f32_e32 v26, v26, v19
	v_add_f32_e32 v23, v23, v67
	;; [unrolled: 1-line block ×5, first 2 shown]
	v_fmac_f32_e32 v12, 0xbee1c552, v15
	v_fmac_f32_e32 v42, 0xbee1c552, v27
	;; [unrolled: 1-line block ×3, first 2 shown]
	v_add_f32_e32 v15, v64, v24
	ds_write2_b32 v1, v10, v7 offset1:55
	ds_write2_b32 v1, v17, v53 offset0:110 offset1:165
	ds_write2_b32 v35, v8, v9 offset0:92 offset1:147
	;; [unrolled: 1-line block ×6, first 2 shown]
	v_add_u32_e32 v7, 0xc00, v5
	v_fmac_f32_e32 v63, 0xbee1c552, v27
	v_fmac_f32_e32 v40, 0xbee1c552, v27
	v_add_f32_e32 v21, v16, v45
	v_sub_f32_e32 v58, v19, v42
	v_sub_f32_e32 v27, v23, v12
	v_add_f32_e32 v12, v12, v23
	v_sub_f32_e32 v16, v45, v16
	v_add_f32_e32 v42, v42, v19
	v_sub_f32_e32 v19, v24, v64
	ds_write2_b32 v7, v6, v15 offset0:2 offset1:57
	ds_write2_b32 v7, v21, v27 offset0:112 offset1:167
	v_add_u32_e32 v6, 0xe00, v5
	ds_write2_b32 v6, v12, v16 offset0:94 offset1:149
	ds_write_b32 v5, v19 offset:4400
	s_waitcnt lgkmcnt(0)
	; wave barrier
	s_waitcnt lgkmcnt(0)
	ds_read2_b32 v[8:9], v1 offset1:55
	ds_read2_b32 v[12:13], v36 offset0:129 offset1:184
	ds_read2_b32 v[10:11], v39 offset0:75 offset1:130
	;; [unrolled: 1-line block ×6, first 2 shown]
	v_add_u32_e32 v4, 0x200, v29
	v_sub_f32_e32 v57, v26, v63
	v_add_f32_e32 v62, v40, v43
	v_sub_f32_e32 v40, v43, v40
	v_add_f32_e32 v43, v63, v26
	ds_read2_b32 v[22:23], v4 offset0:92 offset1:147
	ds_read2_b32 v[24:25], v34 offset0:93 offset1:148
	;; [unrolled: 1-line block ×3, first 2 shown]
	ds_read_b32 v4, v29 offset:1320
	s_waitcnt lgkmcnt(0)
	; wave barrier
	s_waitcnt lgkmcnt(0)
	ds_write2_b32 v1, v49, v28 offset1:55
	ds_write2_b32 v1, v52, v54 offset0:110 offset1:165
	ds_write2_b32 v35, v47, v48 offset0:92 offset1:147
	;; [unrolled: 1-line block ×9, first 2 shown]
	ds_write_b32 v5, v43 offset:4400
	s_waitcnt lgkmcnt(0)
	; wave barrier
	s_waitcnt lgkmcnt(0)
	s_and_saveexec_b64 s[2:3], s[0:1]
	s_cbranch_execz .LBB0_27
; %bb.26:
	v_add_u32_e32 v28, 0x14a, v0
	v_lshlrev_b32_e32 v6, 1, v28
	v_mov_b32_e32 v7, 0
	v_lshlrev_b64 v[5:6], 3, v[6:7]
	v_mov_b32_e32 v66, s9
	v_add_co_u32_e32 v5, vcc, s8, v5
	v_addc_co_u32_e32 v6, vcc, v66, v6, vcc
	v_lshlrev_b32_e32 v54, 1, v0
	global_load_dwordx4 v[34:37], v[5:6], off offset:2992
	v_add_u32_e32 v6, 0x226, v54
	v_lshlrev_b64 v[5:6], 3, v[6:7]
	v_add_u32_e32 v46, 0xa00, v1
	v_add_co_u32_e32 v5, vcc, s8, v5
	v_addc_co_u32_e32 v6, vcc, v66, v6, vcc
	global_load_dwordx4 v[38:41], v[5:6], off offset:2992
	v_lshlrev_b32_e32 v6, 1, v31
	v_lshlrev_b64 v[5:6], 3, v[6:7]
	v_add_u32_e32 v47, 0x800, v1
	v_add_co_u32_e32 v5, vcc, s8, v5
	v_addc_co_u32_e32 v6, vcc, v66, v6, vcc
	global_load_dwordx4 v[42:45], v[5:6], off offset:2992
	v_add_u32_e32 v6, 0x1000, v1
	ds_read_b32 v5, v29 offset:1320
	v_add_u32_e32 v29, 0x200, v29
	ds_read2_b32 v[55:56], v6 offset0:21 offset1:76
	ds_read2_b32 v[57:58], v46 offset0:75 offset1:130
	;; [unrolled: 1-line block ×4, first 2 shown]
	v_lshlrev_b32_e32 v6, 1, v33
	v_lshlrev_b64 v[46:47], 3, v[6:7]
	v_lshlrev_b32_e32 v6, 1, v32
	v_add_co_u32_e32 v46, vcc, s8, v46
	v_lshlrev_b64 v[32:33], 3, v[6:7]
	v_addc_co_u32_e32 v47, vcc, v66, v47, vcc
	global_load_dwordx4 v[46:49], v[46:47], off offset:2992
	v_add_co_u32_e32 v32, vcc, s8, v32
	v_addc_co_u32_e32 v33, vcc, v66, v33, vcc
	global_load_dwordx4 v[50:53], v[32:33], off offset:2992
	s_mov_b32 s1, 0x551c979b
	s_movk_i32 s0, 0x1000
	s_movk_i32 s2, 0x6e0
	s_waitcnt vmcnt(4)
	v_mul_f32_e32 v29, v10, v35
	s_waitcnt lgkmcnt(2)
	v_mul_f32_e32 v32, v57, v35
	v_mul_f32_e32 v33, v56, v37
	;; [unrolled: 1-line block ×3, first 2 shown]
	v_fma_f32 v29, v57, v34, -v29
	v_fmac_f32_e32 v32, v10, v34
	v_fmac_f32_e32 v33, v27, v36
	v_fma_f32 v6, v56, v36, -v6
	s_waitcnt vmcnt(3)
	v_mul_f32_e32 v10, v25, v38
	v_mul_f32_e32 v27, v26, v40
	;; [unrolled: 1-line block ×4, first 2 shown]
	v_add_f32_e32 v34, v5, v29
	v_add_f32_e32 v35, v4, v32
	v_sub_f32_e32 v57, v32, v33
	v_add_f32_e32 v32, v33, v32
	s_waitcnt lgkmcnt(1)
	v_fmac_f32_e32 v10, v60, v39
	v_fmac_f32_e32 v27, v55, v41
	v_fma_f32 v25, v60, v38, -v25
	v_fma_f32 v26, v55, v40, -v26
	v_add_f32_e32 v56, v6, v29
	v_sub_f32_e32 v29, v29, v6
	v_add_f32_e32 v37, v6, v34
	v_add_f32_e32 v36, v33, v35
	v_fmac_f32_e32 v4, -0.5, v32
	v_sub_f32_e32 v6, v10, v27
	v_add_f32_e32 v32, v25, v26
	v_add_f32_e32 v33, v10, v27
	;; [unrolled: 1-line block ×3, first 2 shown]
	v_sub_f32_e32 v34, v25, v26
	s_waitcnt lgkmcnt(0)
	v_add_f32_e32 v25, v25, v62
	v_fma_f32 v41, -0.5, v32, v62
	v_add_f32_e32 v62, v10, v27
	v_add_u32_e32 v10, 0xc00, v1
	v_fmac_f32_e32 v5, -0.5, v56
	ds_read2_b32 v[64:65], v10 offset0:167 offset1:222
	v_mov_b32_e32 v39, v5
	v_fmac_f32_e32 v5, 0x3f5db3d7, v57
	v_fmac_f32_e32 v39, 0xbf5db3d7, v57
	v_mov_b32_e32 v57, v41
	v_fmac_f32_e32 v57, 0x3f5db3d7, v6
	v_fmac_f32_e32 v41, 0xbf5db3d7, v6
	s_waitcnt vmcnt(2)
	v_mul_f32_e32 v6, v24, v43
	v_fma_f32 v40, -0.5, v33, v23
	v_fma_f32 v23, v59, v42, -v6
	v_mul_f32_e32 v6, v21, v45
	s_waitcnt lgkmcnt(0)
	v_fma_f32 v27, v65, v44, -v6
	v_add_f32_e32 v6, v23, v27
	v_fma_f32 v60, -0.5, v6, v61
	v_lshlrev_b32_e32 v6, 1, v30
	v_add_f32_e32 v63, v26, v25
	v_lshlrev_b64 v[25:26], 3, v[6:7]
	v_mul_f32_e32 v67, v59, v43
	v_mul_f32_e32 v6, v65, v45
	v_add_co_u32_e32 v25, vcc, s8, v25
	v_fmac_f32_e32 v67, v24, v42
	v_fmac_f32_e32 v6, v21, v44
	v_mov_b32_e32 v56, v40
	v_addc_co_u32_e32 v26, vcc, v66, v26, vcc
	v_add_f32_e32 v24, v67, v6
	v_mov_b32_e32 v38, v4
	v_fmac_f32_e32 v56, 0xbf5db3d7, v34
	v_fmac_f32_e32 v40, 0x3f5db3d7, v34
	global_load_dwordx4 v[32:35], v[25:26], off offset:2992
	v_fma_f32 v59, -0.5, v24, v22
	v_fmac_f32_e32 v4, 0xbf5db3d7, v29
	v_fmac_f32_e32 v38, 0x3f5db3d7, v29
	v_sub_f32_e32 v21, v67, v6
	v_mov_b32_e32 v30, v60
	v_sub_f32_e32 v24, v23, v27
	v_mov_b32_e32 v29, v59
	v_mov_b32_e32 v55, v7
	v_fmac_f32_e32 v30, 0xbf5db3d7, v21
	v_fmac_f32_e32 v29, 0x3f5db3d7, v24
	;; [unrolled: 1-line block ×4, first 2 shown]
	v_add_f32_e32 v21, v61, v23
	v_lshlrev_b64 v[23:24], 3, v[54:55]
	v_add_f32_e32 v43, v21, v27
	v_add_co_u32_e32 v23, vcc, s8, v23
	v_addc_co_u32_e32 v24, vcc, v66, v24, vcc
	global_load_dwordx4 v[23:26], v[23:24], off offset:2992
	v_add_u32_e32 v21, 0x600, v1
	ds_read2_b32 v[44:45], v21 offset0:111 offset1:166
	v_add_f32_e32 v21, v22, v67
	v_add_f32_e32 v42, v21, v6
	ds_read2_b32 v[21:22], v1 offset0:110 offset1:165
	s_waitcnt vmcnt(3)
	v_mul_f32_e32 v6, v19, v47
	v_mul_f32_e32 v27, v20, v49
	s_waitcnt lgkmcnt(1)
	v_fma_f32 v6, v45, v46, -v6
	v_fma_f32 v27, v64, v48, -v27
	v_add_f32_e32 v54, v6, v27
	v_mul_f32_e32 v45, v45, v47
	v_mul_f32_e32 v47, v64, v49
	s_waitcnt lgkmcnt(0)
	v_fma_f32 v55, -0.5, v54, v22
	v_fmac_f32_e32 v45, v19, v46
	v_fmac_f32_e32 v47, v20, v48
	v_sub_f32_e32 v49, v6, v27
	v_add_f32_e32 v6, v22, v6
	v_sub_f32_e32 v48, v45, v47
	v_mov_b32_e32 v20, v55
	v_add_f32_e32 v46, v6, v27
	v_add_f32_e32 v6, v17, v45
	v_fmac_f32_e32 v20, 0xbf5db3d7, v48
	v_add_f32_e32 v19, v45, v47
	v_add_f32_e32 v45, v6, v47
	v_fmac_f32_e32 v55, 0x3f5db3d7, v48
	ds_read2_b32 v[47:48], v10 offset0:57 offset1:112
	s_waitcnt vmcnt(2)
	v_mul_f32_e32 v6, v18, v51
	v_mul_f32_e32 v10, v15, v53
	v_fma_f32 v54, -0.5, v19, v17
	v_fma_f32 v6, v44, v50, -v6
	s_waitcnt lgkmcnt(0)
	v_fma_f32 v10, v48, v52, -v10
	v_mul_f32_e32 v27, v44, v51
	v_mul_f32_e32 v44, v48, v53
	v_mov_b32_e32 v19, v54
	v_add_f32_e32 v17, v6, v10
	v_fmac_f32_e32 v27, v18, v50
	v_fmac_f32_e32 v44, v15, v52
	;; [unrolled: 1-line block ×4, first 2 shown]
	v_fma_f32 v49, -0.5, v17, v21
	v_add_f32_e32 v17, v27, v44
	v_fma_f32 v48, -0.5, v17, v16
	v_sub_f32_e32 v22, v6, v10
	v_mov_b32_e32 v17, v48
	v_add_f32_e32 v6, v21, v6
	v_fmac_f32_e32 v17, 0x3f5db3d7, v22
	v_fmac_f32_e32 v48, 0xbf5db3d7, v22
	v_add_f32_e32 v22, v6, v10
	v_add_u32_e32 v6, 0x400, v1
	ds_read2_b32 v[50:51], v6 offset0:129 offset1:184
	v_sub_f32_e32 v15, v27, v44
	v_mov_b32_e32 v18, v49
	v_fmac_f32_e32 v18, 0xbf5db3d7, v15
	v_fmac_f32_e32 v49, 0x3f5db3d7, v15
	v_add_f32_e32 v6, v16, v27
	ds_read2_b32 v[15:16], v1 offset1:55
	v_add_f32_e32 v21, v6, v44
	v_add_co_u32_e32 v2, vcc, s12, v2
	s_waitcnt vmcnt(1)
	v_mul_f32_e32 v1, v13, v33
	v_mul_f32_e32 v6, v14, v35
	s_waitcnt lgkmcnt(1)
	v_fma_f32 v1, v51, v32, -v1
	v_fma_f32 v6, v47, v34, -v6
	v_mul_f32_e32 v27, v51, v33
	v_add_f32_e32 v10, v1, v6
	v_fmac_f32_e32 v27, v13, v32
	v_mul_f32_e32 v32, v47, v35
	s_waitcnt lgkmcnt(0)
	v_fma_f32 v52, -0.5, v10, v16
	v_fmac_f32_e32 v32, v14, v34
	v_sub_f32_e32 v10, v27, v32
	v_mov_b32_e32 v14, v52
	v_sub_f32_e32 v33, v1, v6
	v_add_f32_e32 v1, v16, v1
	v_fmac_f32_e32 v14, 0xbf5db3d7, v10
	v_add_f32_e32 v13, v27, v32
	v_fmac_f32_e32 v52, 0x3f5db3d7, v10
	v_add_f32_e32 v10, v1, v6
	v_add_f32_e32 v1, v9, v27
	v_fma_f32 v51, -0.5, v13, v9
	v_add_f32_e32 v9, v1, v32
	s_waitcnt vmcnt(0)
	v_mul_f32_e32 v1, v12, v24
	v_mul_f32_e32 v6, v11, v26
	v_fma_f32 v1, v50, v23, -v1
	v_fma_f32 v6, v58, v25, -v6
	v_mul_f32_e32 v24, v50, v24
	v_add_f32_e32 v16, v1, v6
	v_fmac_f32_e32 v24, v12, v23
	v_mul_f32_e32 v23, v58, v26
	v_fma_f32 v27, -0.5, v16, v15
	v_fmac_f32_e32 v23, v11, v25
	v_sub_f32_e32 v16, v24, v23
	v_mov_b32_e32 v12, v27
	v_sub_f32_e32 v25, v1, v6
	v_add_f32_e32 v1, v15, v1
	v_fmac_f32_e32 v12, 0xbf5db3d7, v16
	v_fmac_f32_e32 v27, 0x3f5db3d7, v16
	v_add_f32_e32 v16, v1, v6
	v_add_f32_e32 v1, v8, v24
	;; [unrolled: 1-line block ×3, first 2 shown]
	v_mov_b32_e32 v1, v7
	v_mov_b32_e32 v6, s13
	v_addc_co_u32_e32 v3, vcc, v6, v3, vcc
	v_lshlrev_b64 v[0:1], 3, v[0:1]
	v_mul_hi_u32 v6, v31, s1
	v_add_f32_e32 v11, v24, v23
	v_add_co_u32_e32 v0, vcc, v2, v0
	v_fma_f32 v26, -0.5, v11, v8
	v_addc_co_u32_e32 v1, vcc, v3, v1, vcc
	v_mov_b32_e32 v11, v26
	v_add_co_u32_e32 v2, vcc, s0, v0
	v_lshrrev_b32_e32 v6, 7, v6
	v_mov_b32_e32 v13, v51
	v_fmac_f32_e32 v11, 0x3f5db3d7, v25
	v_addc_co_u32_e32 v3, vcc, 0, v1, vcc
	v_mul_u32_u24_e32 v6, 0x302, v6
	v_fmac_f32_e32 v13, 0x3f5db3d7, v33
	v_fmac_f32_e32 v51, 0xbf5db3d7, v33
	;; [unrolled: 1-line block ×3, first 2 shown]
	global_store_dwordx2 v[0:1], v[15:16], off
	global_store_dwordx2 v[0:1], v[26:27], off offset:3080
	global_store_dwordx2 v[2:3], v[11:12], off offset:2064
	;; [unrolled: 1-line block ×8, first 2 shown]
	v_lshlrev_b64 v[8:9], 3, v[6:7]
	global_store_dwordx2 v[0:1], v[45:46], off offset:1320
	global_store_dwordx2 v[2:3], v[54:55], off offset:304
	;; [unrolled: 1-line block ×3, first 2 shown]
	v_add_co_u32_e32 v8, vcc, v0, v8
	v_addc_co_u32_e32 v9, vcc, v1, v9, vcc
	v_add_co_u32_e32 v10, vcc, s2, v8
	v_addc_co_u32_e32 v11, vcc, 0, v9, vcc
	global_store_dwordx2 v[8:9], v[42:43], off offset:1760
	global_store_dwordx2 v[10:11], v[59:60], off offset:3080
	v_add_co_u32_e32 v8, vcc, s0, v8
	v_mul_hi_u32 v6, v28, s1
	v_addc_co_u32_e32 v9, vcc, 0, v9, vcc
	s_movk_i32 s0, 0x2000
	global_store_dwordx2 v[8:9], v[29:30], off offset:3824
	global_store_dwordx2 v[0:1], v[62:63], off offset:2200
	;; [unrolled: 1-line block ×3, first 2 shown]
	v_add_co_u32_e32 v2, vcc, s0, v0
	v_addc_co_u32_e32 v3, vcc, 0, v1, vcc
	global_store_dwordx2 v[2:3], v[40:41], off offset:168
	v_lshrrev_b32_e32 v2, 7, v6
	v_mul_u32_u24_e32 v6, 0x302, v2
	v_lshlrev_b64 v[2:3], 3, v[6:7]
	v_add_co_u32_e32 v0, vcc, v0, v2
	v_addc_co_u32_e32 v1, vcc, v1, v3, vcc
	v_add_co_u32_e32 v2, vcc, 0xa50, v0
	v_addc_co_u32_e32 v3, vcc, 0, v1, vcc
	global_store_dwordx2 v[0:1], v[36:37], off offset:2640
	global_store_dwordx2 v[2:3], v[4:5], off offset:3080
	v_add_co_u32_e32 v0, vcc, 0x2000, v0
	v_addc_co_u32_e32 v1, vcc, 0, v1, vcc
	global_store_dwordx2 v[0:1], v[38:39], off offset:608
.LBB0_27:
	s_endpgm
	.section	.rodata,"a",@progbits
	.p2align	6, 0x0
	.amdhsa_kernel fft_rtc_back_len1155_factors_11_5_7_3_wgs_55_tpt_55_halfLds_sp_ip_CI_unitstride_sbrr_dirReg
		.amdhsa_group_segment_fixed_size 0
		.amdhsa_private_segment_fixed_size 0
		.amdhsa_kernarg_size 88
		.amdhsa_user_sgpr_count 6
		.amdhsa_user_sgpr_private_segment_buffer 1
		.amdhsa_user_sgpr_dispatch_ptr 0
		.amdhsa_user_sgpr_queue_ptr 0
		.amdhsa_user_sgpr_kernarg_segment_ptr 1
		.amdhsa_user_sgpr_dispatch_id 0
		.amdhsa_user_sgpr_flat_scratch_init 0
		.amdhsa_user_sgpr_private_segment_size 0
		.amdhsa_uses_dynamic_stack 0
		.amdhsa_system_sgpr_private_segment_wavefront_offset 0
		.amdhsa_system_sgpr_workgroup_id_x 1
		.amdhsa_system_sgpr_workgroup_id_y 0
		.amdhsa_system_sgpr_workgroup_id_z 0
		.amdhsa_system_sgpr_workgroup_info 0
		.amdhsa_system_vgpr_workitem_id 0
		.amdhsa_next_free_vgpr 116
		.amdhsa_next_free_sgpr 22
		.amdhsa_reserve_vcc 1
		.amdhsa_reserve_flat_scratch 0
		.amdhsa_float_round_mode_32 0
		.amdhsa_float_round_mode_16_64 0
		.amdhsa_float_denorm_mode_32 3
		.amdhsa_float_denorm_mode_16_64 3
		.amdhsa_dx10_clamp 1
		.amdhsa_ieee_mode 1
		.amdhsa_fp16_overflow 0
		.amdhsa_exception_fp_ieee_invalid_op 0
		.amdhsa_exception_fp_denorm_src 0
		.amdhsa_exception_fp_ieee_div_zero 0
		.amdhsa_exception_fp_ieee_overflow 0
		.amdhsa_exception_fp_ieee_underflow 0
		.amdhsa_exception_fp_ieee_inexact 0
		.amdhsa_exception_int_div_zero 0
	.end_amdhsa_kernel
	.text
.Lfunc_end0:
	.size	fft_rtc_back_len1155_factors_11_5_7_3_wgs_55_tpt_55_halfLds_sp_ip_CI_unitstride_sbrr_dirReg, .Lfunc_end0-fft_rtc_back_len1155_factors_11_5_7_3_wgs_55_tpt_55_halfLds_sp_ip_CI_unitstride_sbrr_dirReg
                                        ; -- End function
	.section	.AMDGPU.csdata,"",@progbits
; Kernel info:
; codeLenInByte = 13024
; NumSgprs: 26
; NumVgprs: 116
; ScratchSize: 0
; MemoryBound: 0
; FloatMode: 240
; IeeeMode: 1
; LDSByteSize: 0 bytes/workgroup (compile time only)
; SGPRBlocks: 3
; VGPRBlocks: 28
; NumSGPRsForWavesPerEU: 26
; NumVGPRsForWavesPerEU: 116
; Occupancy: 2
; WaveLimiterHint : 1
; COMPUTE_PGM_RSRC2:SCRATCH_EN: 0
; COMPUTE_PGM_RSRC2:USER_SGPR: 6
; COMPUTE_PGM_RSRC2:TRAP_HANDLER: 0
; COMPUTE_PGM_RSRC2:TGID_X_EN: 1
; COMPUTE_PGM_RSRC2:TGID_Y_EN: 0
; COMPUTE_PGM_RSRC2:TGID_Z_EN: 0
; COMPUTE_PGM_RSRC2:TIDIG_COMP_CNT: 0
	.type	__hip_cuid_c5c6640cb2ee2e4c,@object ; @__hip_cuid_c5c6640cb2ee2e4c
	.section	.bss,"aw",@nobits
	.globl	__hip_cuid_c5c6640cb2ee2e4c
__hip_cuid_c5c6640cb2ee2e4c:
	.byte	0                               ; 0x0
	.size	__hip_cuid_c5c6640cb2ee2e4c, 1

	.ident	"AMD clang version 19.0.0git (https://github.com/RadeonOpenCompute/llvm-project roc-6.4.0 25133 c7fe45cf4b819c5991fe208aaa96edf142730f1d)"
	.section	".note.GNU-stack","",@progbits
	.addrsig
	.addrsig_sym __hip_cuid_c5c6640cb2ee2e4c
	.amdgpu_metadata
---
amdhsa.kernels:
  - .args:
      - .actual_access:  read_only
        .address_space:  global
        .offset:         0
        .size:           8
        .value_kind:     global_buffer
      - .offset:         8
        .size:           8
        .value_kind:     by_value
      - .actual_access:  read_only
        .address_space:  global
        .offset:         16
        .size:           8
        .value_kind:     global_buffer
      - .actual_access:  read_only
        .address_space:  global
        .offset:         24
        .size:           8
        .value_kind:     global_buffer
      - .offset:         32
        .size:           8
        .value_kind:     by_value
      - .actual_access:  read_only
        .address_space:  global
        .offset:         40
        .size:           8
        .value_kind:     global_buffer
      - .actual_access:  read_only
        .address_space:  global
        .offset:         48
        .size:           8
        .value_kind:     global_buffer
      - .offset:         56
        .size:           4
        .value_kind:     by_value
      - .actual_access:  read_only
        .address_space:  global
        .offset:         64
        .size:           8
        .value_kind:     global_buffer
      - .actual_access:  read_only
        .address_space:  global
        .offset:         72
        .size:           8
        .value_kind:     global_buffer
      - .address_space:  global
        .offset:         80
        .size:           8
        .value_kind:     global_buffer
    .group_segment_fixed_size: 0
    .kernarg_segment_align: 8
    .kernarg_segment_size: 88
    .language:       OpenCL C
    .language_version:
      - 2
      - 0
    .max_flat_workgroup_size: 55
    .name:           fft_rtc_back_len1155_factors_11_5_7_3_wgs_55_tpt_55_halfLds_sp_ip_CI_unitstride_sbrr_dirReg
    .private_segment_fixed_size: 0
    .sgpr_count:     26
    .sgpr_spill_count: 0
    .symbol:         fft_rtc_back_len1155_factors_11_5_7_3_wgs_55_tpt_55_halfLds_sp_ip_CI_unitstride_sbrr_dirReg.kd
    .uniform_work_group_size: 1
    .uses_dynamic_stack: false
    .vgpr_count:     116
    .vgpr_spill_count: 0
    .wavefront_size: 64
amdhsa.target:   amdgcn-amd-amdhsa--gfx906
amdhsa.version:
  - 1
  - 2
...

	.end_amdgpu_metadata
